;; amdgpu-corpus repo=ROCm/rocFFT kind=compiled arch=gfx906 opt=O3
	.text
	.amdgcn_target "amdgcn-amd-amdhsa--gfx906"
	.amdhsa_code_object_version 6
	.protected	bluestein_single_back_len1275_dim1_sp_op_CI_CI ; -- Begin function bluestein_single_back_len1275_dim1_sp_op_CI_CI
	.globl	bluestein_single_back_len1275_dim1_sp_op_CI_CI
	.p2align	8
	.type	bluestein_single_back_len1275_dim1_sp_op_CI_CI,@function
bluestein_single_back_len1275_dim1_sp_op_CI_CI: ; @bluestein_single_back_len1275_dim1_sp_op_CI_CI
; %bb.0:
	s_mov_b64 s[22:23], s[2:3]
	v_mul_u32_u24_e32 v1, 0x304, v0
	s_mov_b64 s[20:21], s[0:1]
	s_load_dwordx4 s[0:3], s[4:5], 0x28
	v_lshrrev_b32_e32 v1, 16, v1
	s_add_u32 s20, s20, s7
	v_mad_u64_u32 v[100:101], s[6:7], s6, 3, v[1:2]
	v_mov_b32_e32 v101, 0
	s_addc_u32 s21, s21, 0
	s_waitcnt lgkmcnt(0)
	v_cmp_gt_u64_e32 vcc, s[0:1], v[100:101]
	s_and_saveexec_b64 s[0:1], vcc
	s_cbranch_execz .LBB0_15
; %bb.1:
	s_mov_b32 s0, 0xaaaaaaab
	v_mul_hi_u32 v2, v100, s0
	v_mul_lo_u16_e32 v1, 0x55, v1
	s_load_dwordx2 s[8:9], s[4:5], 0x0
	s_load_dwordx2 s[10:11], s[4:5], 0x38
	v_sub_u16_e32 v116, v0, v1
	v_lshrrev_b32_e32 v0, 1, v2
	v_lshl_add_u32 v0, v0, 1, v0
	v_sub_u32_e32 v0, v100, v0
	v_mul_u32_u24_e32 v48, 0x4fb, v0
	s_movk_i32 s0, 0x4b
	v_cmp_gt_u16_e64 s[0:1], s0, v116
	v_lshlrev_b32_e32 v115, 3, v116
	v_lshlrev_b32_e32 v117, 3, v48
	s_and_saveexec_b64 s[6:7], s[0:1]
	s_cbranch_execz .LBB0_3
; %bb.2:
	s_load_dwordx2 s[12:13], s[4:5], 0x18
	s_waitcnt lgkmcnt(0)
	s_load_dwordx4 s[12:15], s[12:13], 0x0
	s_waitcnt lgkmcnt(0)
	v_mad_u64_u32 v[0:1], s[16:17], s14, v100, 0
	v_mad_u64_u32 v[2:3], s[16:17], s12, v116, 0
	;; [unrolled: 1-line block ×4, first 2 shown]
	v_mov_b32_e32 v1, v4
	v_lshlrev_b64 v[0:1], 3, v[0:1]
	v_mov_b32_e32 v3, v5
	v_mov_b32_e32 v6, s3
	v_lshlrev_b64 v[2:3], 3, v[2:3]
	v_add_co_u32_e32 v0, vcc, s2, v0
	v_addc_co_u32_e32 v1, vcc, v6, v1, vcc
	v_add_co_u32_e32 v0, vcc, v0, v2
	v_addc_co_u32_e32 v1, vcc, v1, v3, vcc
	v_mov_b32_e32 v2, s9
	v_add_co_u32_e32 v61, vcc, s8, v115
	s_mul_i32 s2, s13, 0x258
	s_mul_hi_u32 s3, s12, 0x258
	v_addc_co_u32_e32 v62, vcc, 0, v2, vcc
	s_add_i32 s2, s3, s2
	s_mul_i32 s3, s12, 0x258
	v_mov_b32_e32 v3, s2
	v_add_co_u32_e32 v2, vcc, s3, v0
	v_addc_co_u32_e32 v3, vcc, v1, v3, vcc
	v_mov_b32_e32 v5, s2
	v_add_co_u32_e32 v4, vcc, s3, v2
	v_addc_co_u32_e32 v5, vcc, v3, v5, vcc
	;; [unrolled: 3-line block ×3, first 2 shown]
	global_load_dwordx2 v[8:9], v[0:1], off
	global_load_dwordx2 v[10:11], v[2:3], off
	;; [unrolled: 1-line block ×4, first 2 shown]
	global_load_dwordx2 v[16:17], v115, s[8:9]
	global_load_dwordx2 v[18:19], v115, s[8:9] offset:600
	global_load_dwordx2 v[20:21], v115, s[8:9] offset:1200
	;; [unrolled: 1-line block ×3, first 2 shown]
	v_mov_b32_e32 v1, s2
	v_add_co_u32_e32 v0, vcc, s3, v6
	v_addc_co_u32_e32 v1, vcc, v7, v1, vcc
	global_load_dwordx2 v[2:3], v[0:1], off
	v_mov_b32_e32 v4, s2
	v_add_co_u32_e32 v0, vcc, s3, v0
	v_addc_co_u32_e32 v1, vcc, v1, v4, vcc
	global_load_dwordx2 v[4:5], v[0:1], off
	;; [unrolled: 4-line block ×3, first 2 shown]
	global_load_dwordx2 v[24:25], v115, s[8:9] offset:2400
	global_load_dwordx2 v[26:27], v115, s[8:9] offset:3000
	;; [unrolled: 1-line block ×3, first 2 shown]
	v_mov_b32_e32 v30, s2
	v_add_co_u32_e32 v0, vcc, s3, v0
	v_addc_co_u32_e32 v1, vcc, v1, v30, vcc
	s_movk_i32 s12, 0x1000
	v_add_co_u32_e32 v32, vcc, s12, v61
	v_addc_co_u32_e32 v33, vcc, 0, v62, vcc
	global_load_dwordx2 v[30:31], v[0:1], off
	v_mov_b32_e32 v34, s2
	v_add_co_u32_e32 v0, vcc, s3, v0
	v_addc_co_u32_e32 v1, vcc, v1, v34, vcc
	global_load_dwordx2 v[34:35], v[0:1], off
	v_mov_b32_e32 v36, s2
	;; [unrolled: 4-line block ×3, first 2 shown]
	v_add_co_u32_e32 v0, vcc, s3, v0
	v_addc_co_u32_e32 v1, vcc, v1, v38, vcc
	global_load_dwordx2 v[38:39], v[0:1], off
	global_load_dwordx2 v[40:41], v[32:33], off offset:104
	global_load_dwordx2 v[42:43], v[32:33], off offset:704
	;; [unrolled: 1-line block ×4, first 2 shown]
	v_mov_b32_e32 v49, s2
	v_add_co_u32_e32 v0, vcc, s3, v0
	v_addc_co_u32_e32 v1, vcc, v1, v49, vcc
	global_load_dwordx2 v[49:50], v[0:1], off
	v_mov_b32_e32 v51, s2
	v_add_co_u32_e32 v0, vcc, s3, v0
	v_addc_co_u32_e32 v1, vcc, v1, v51, vcc
	global_load_dwordx2 v[51:52], v[0:1], off
	;; [unrolled: 4-line block ×3, first 2 shown]
	global_load_dwordx2 v[55:56], v[32:33], off offset:2504
	global_load_dwordx2 v[57:58], v[32:33], off offset:3104
	;; [unrolled: 1-line block ×3, first 2 shown]
	v_mov_b32_e32 v32, s2
	v_add_co_u32_e32 v0, vcc, s3, v0
	v_addc_co_u32_e32 v1, vcc, v1, v32, vcc
	s_movk_i32 s12, 0x2000
	v_add_co_u32_e32 v61, vcc, s12, v61
	v_addc_co_u32_e32 v62, vcc, 0, v62, vcc
	global_load_dwordx2 v[32:33], v[0:1], off
	v_mov_b32_e32 v65, s2
	v_add_co_u32_e32 v0, vcc, s3, v0
	v_addc_co_u32_e32 v1, vcc, v1, v65, vcc
	global_load_dwordx2 v[63:64], v[61:62], off offset:208
	global_load_dwordx2 v[65:66], v[0:1], off
	global_load_dwordx2 v[67:68], v[61:62], off offset:808
	v_mov_b32_e32 v69, s2
	v_add_co_u32_e32 v0, vcc, s3, v0
	v_addc_co_u32_e32 v1, vcc, v1, v69, vcc
	global_load_dwordx2 v[69:70], v[0:1], off
	global_load_dwordx2 v[71:72], v[61:62], off offset:1408
	s_waitcnt vmcnt(29)
	v_mul_f32_e32 v0, v9, v17
	v_mul_f32_e32 v1, v8, v17
	v_fmac_f32_e32 v0, v8, v16
	v_lshl_add_u32 v61, v116, 3, v117
	v_fma_f32 v1, v9, v16, -v1
	ds_write_b64 v61, v[0:1]
	s_waitcnt vmcnt(28)
	v_mul_f32_e32 v0, v11, v19
	v_mul_f32_e32 v1, v10, v19
	s_waitcnt vmcnt(27)
	v_mul_f32_e32 v8, v13, v21
	v_mul_f32_e32 v9, v12, v21
	v_fmac_f32_e32 v0, v10, v18
	v_add_u32_e32 v16, v117, v115
	v_fma_f32 v1, v11, v18, -v1
	v_fmac_f32_e32 v8, v12, v20
	v_fma_f32 v9, v13, v20, -v9
	ds_write2_b64 v16, v[0:1], v[8:9] offset0:75 offset1:150
	s_waitcnt vmcnt(22)
	v_mul_f32_e32 v8, v3, v25
	v_mul_f32_e32 v0, v15, v23
	;; [unrolled: 1-line block ×3, first 2 shown]
	v_fmac_f32_e32 v8, v2, v24
	v_mul_f32_e32 v2, v2, v25
	v_fmac_f32_e32 v0, v14, v22
	v_fma_f32 v1, v15, v22, -v1
	v_fma_f32 v9, v3, v24, -v2
	v_add_u32_e32 v2, 0x400, v16
	ds_write2_b64 v2, v[0:1], v[8:9] offset0:97 offset1:172
	s_waitcnt vmcnt(21)
	v_mul_f32_e32 v0, v5, v27
	v_mul_f32_e32 v1, v4, v27
	s_waitcnt vmcnt(20)
	v_mul_f32_e32 v2, v7, v29
	v_mul_f32_e32 v3, v6, v29
	v_fmac_f32_e32 v0, v4, v26
	v_fma_f32 v1, v5, v26, -v1
	v_fmac_f32_e32 v2, v6, v28
	v_fma_f32 v3, v7, v28, -v3
	v_add_u32_e32 v4, 0x800, v16
	ds_write2_b64 v4, v[0:1], v[2:3] offset0:119 offset1:194
	s_waitcnt vmcnt(15)
	v_mul_f32_e32 v0, v31, v41
	v_mul_f32_e32 v1, v30, v41
	s_waitcnt vmcnt(14)
	v_mul_f32_e32 v2, v35, v43
	v_mul_f32_e32 v3, v34, v43
	v_fmac_f32_e32 v0, v30, v40
	v_fma_f32 v1, v31, v40, -v1
	v_fmac_f32_e32 v2, v34, v42
	v_fma_f32 v3, v35, v42, -v3
	v_add_u32_e32 v4, 0x1000, v16
	ds_write2_b64 v4, v[0:1], v[2:3] offset0:13 offset1:88
	s_waitcnt vmcnt(13)
	v_mul_f32_e32 v0, v37, v45
	v_mul_f32_e32 v1, v36, v45
	s_waitcnt vmcnt(12)
	v_mul_f32_e32 v2, v39, v47
	v_mul_f32_e32 v3, v38, v47
	v_fmac_f32_e32 v0, v36, v44
	v_fma_f32 v1, v37, v44, -v1
	v_fmac_f32_e32 v2, v38, v46
	v_fma_f32 v3, v39, v46, -v3
	ds_write2_b64 v4, v[0:1], v[2:3] offset0:163 offset1:238
	s_waitcnt vmcnt(8)
	v_mul_f32_e32 v0, v50, v56
	v_mul_f32_e32 v1, v49, v56
	s_waitcnt vmcnt(7)
	v_mul_f32_e32 v2, v52, v58
	v_mul_f32_e32 v3, v51, v58
	v_fmac_f32_e32 v0, v49, v55
	v_fma_f32 v1, v50, v55, -v1
	v_fmac_f32_e32 v2, v51, v57
	v_fma_f32 v3, v52, v57, -v3
	v_add_u32_e32 v4, 0x1800, v16
	ds_write2_b64 v4, v[0:1], v[2:3] offset0:57 offset1:132
	s_waitcnt vmcnt(6)
	v_mul_f32_e32 v0, v54, v60
	v_mul_f32_e32 v1, v53, v60
	v_fmac_f32_e32 v0, v53, v59
	v_fma_f32 v1, v54, v59, -v1
	v_add_u32_e32 v4, 0x1c00, v16
	s_waitcnt vmcnt(4)
	v_mul_f32_e32 v2, v33, v64
	v_mul_f32_e32 v3, v32, v64
	v_fmac_f32_e32 v2, v32, v63
	v_fma_f32 v3, v33, v63, -v3
	ds_write2_b64 v4, v[0:1], v[2:3] offset0:79 offset1:154
	s_waitcnt vmcnt(2)
	v_mul_f32_e32 v0, v66, v68
	v_mul_f32_e32 v1, v65, v68
	s_waitcnt vmcnt(0)
	v_mul_f32_e32 v2, v70, v72
	v_mul_f32_e32 v3, v69, v72
	v_fmac_f32_e32 v0, v65, v67
	v_fma_f32 v1, v66, v67, -v1
	v_fmac_f32_e32 v2, v69, v71
	v_fma_f32 v3, v70, v71, -v3
	v_add_u32_e32 v4, 0x2000, v16
	ds_write2_b64 v4, v[0:1], v[2:3] offset0:101 offset1:176
.LBB0_3:
	s_or_b64 exec, exec, s[6:7]
	s_load_dwordx2 s[6:7], s[4:5], 0x20
	s_load_dwordx2 s[2:3], s[4:5], 0x8
	v_mov_b32_e32 v4, 0
	v_mov_b32_e32 v5, 0
	s_waitcnt lgkmcnt(0)
	s_barrier
	s_waitcnt lgkmcnt(0)
                                        ; implicit-def: $vgpr22
                                        ; implicit-def: $vgpr16
                                        ; implicit-def: $vgpr12
                                        ; implicit-def: $vgpr8
                                        ; implicit-def: $vgpr36
                                        ; implicit-def: $vgpr26
                                        ; implicit-def: $vgpr30
                                        ; implicit-def: $vgpr34
	s_and_saveexec_b64 s[4:5], s[0:1]
	s_cbranch_execz .LBB0_5
; %bb.4:
	v_lshl_add_u32 v0, v48, 3, v115
	v_add_u32_e32 v1, 0x800, v0
	ds_read2_b64 v[4:7], v0 offset1:75
	ds_read2_b64 v[32:35], v0 offset0:150 offset1:225
	ds_read2_b64 v[28:31], v1 offset0:44 offset1:119
	v_add_u32_e32 v1, 0xc00, v0
	ds_read2_b64 v[24:27], v1 offset0:66 offset1:141
	v_add_u32_e32 v1, 0x1000, v0
	ds_read2_b64 v[20:23], v1 offset0:88 offset1:163
	v_add_u32_e32 v1, 0x1400, v0
	ds_read2_b64 v[16:19], v1 offset0:110 offset1:185
	v_add_u32_e32 v1, 0x1800, v0
	ds_read2_b64 v[12:15], v1 offset0:132 offset1:207
	v_add_u32_e32 v1, 0x2000, v0
	ds_read2_b64 v[8:11], v1 offset0:26 offset1:101
	ds_read_b64 v[36:37], v0 offset:9600
.LBB0_5:
	s_or_b64 exec, exec, s[4:5]
	s_waitcnt lgkmcnt(0)
	v_sub_f32_e32 v72, v7, v37
	v_mul_f32_e32 v55, 0xbeb8f4ab, v72
	v_sub_f32_e32 v77, v33, v11
	v_add_f32_e32 v38, v36, v6
	v_sub_f32_e32 v80, v6, v36
	v_mov_b32_e32 v0, v55
	v_mul_f32_e32 v56, 0xbf2c7751, v77
	v_add_f32_e32 v40, v37, v7
	s_mov_b32 s12, 0x3f6eb680
	v_mul_f32_e32 v57, 0xbeb8f4ab, v80
	v_fmac_f32_e32 v0, 0x3f6eb680, v38
	v_add_f32_e32 v39, v10, v32
	v_sub_f32_e32 v85, v32, v10
	v_mov_b32_e32 v41, v56
	v_add_f32_e32 v0, v0, v4
	v_fma_f32 v1, v40, s12, -v57
	s_mov_b32 s13, 0x3f3d2fb0
	v_mul_f32_e32 v61, 0xbf2c7751, v72
	v_add_f32_e32 v42, v11, v33
	v_mul_f32_e32 v59, 0xbf2c7751, v85
	v_fmac_f32_e32 v41, 0x3f3d2fb0, v39
	v_add_f32_e32 v1, v1, v5
	v_mov_b32_e32 v2, v61
	v_add_f32_e32 v0, v41, v0
	v_fma_f32 v41, v42, s13, -v59
	v_mul_f32_e32 v64, 0xbf7ee86f, v77
	v_mul_f32_e32 v66, 0xbf2c7751, v80
	v_fmac_f32_e32 v2, 0x3f3d2fb0, v38
	v_add_f32_e32 v1, v41, v1
	v_mov_b32_e32 v41, v64
	v_add_f32_e32 v2, v2, v4
	v_fma_f32 v3, v40, s13, -v66
	s_mov_b32 s14, 0x3dbcf732
	v_mul_f32_e32 v70, 0xbf7ee86f, v85
	v_fmac_f32_e32 v41, 0x3dbcf732, v39
	v_sub_f32_e32 v82, v35, v9
	v_add_f32_e32 v3, v3, v5
	v_add_f32_e32 v2, v41, v2
	v_fma_f32 v41, v42, s14, -v70
	v_mul_f32_e32 v58, 0xbf65296c, v82
	v_add_f32_e32 v3, v41, v3
	v_add_f32_e32 v41, v8, v34
	v_sub_f32_e32 v89, v34, v8
	v_mov_b32_e32 v43, v58
	v_add_f32_e32 v44, v9, v35
	s_mov_b32 s15, 0x3ee437d1
	v_mul_f32_e32 v62, 0xbf65296c, v89
	v_fmac_f32_e32 v43, 0x3ee437d1, v41
	v_add_f32_e32 v0, v43, v0
	v_fma_f32 v43, v44, s15, -v62
	v_mul_f32_e32 v68, 0xbf4c4adb, v82
	v_add_f32_e32 v1, v43, v1
	v_mov_b32_e32 v43, v68
	s_mov_b32 s16, 0xbf1a4643
	v_mul_f32_e32 v76, 0xbf4c4adb, v89
	v_fmac_f32_e32 v43, 0xbf1a4643, v41
	v_sub_f32_e32 v87, v29, v15
	v_add_f32_e32 v2, v43, v2
	v_fma_f32 v43, v44, s16, -v76
	v_mul_f32_e32 v60, 0xbf7ee86f, v87
	v_add_f32_e32 v3, v43, v3
	v_add_f32_e32 v43, v14, v28
	v_sub_f32_e32 v97, v28, v14
	v_mov_b32_e32 v45, v60
	v_add_f32_e32 v46, v15, v29
	v_mul_f32_e32 v65, 0xbf7ee86f, v97
	v_fmac_f32_e32 v45, 0x3dbcf732, v43
	v_add_f32_e32 v0, v45, v0
	v_fma_f32 v45, v46, s14, -v65
	v_mul_f32_e32 v73, 0xbe3c28d5, v87
	v_add_f32_e32 v1, v45, v1
	v_mov_b32_e32 v45, v73
	s_mov_b32 s17, 0xbf7ba420
	v_mul_f32_e32 v81, 0xbe3c28d5, v97
	v_fmac_f32_e32 v45, 0xbf7ba420, v43
	v_sub_f32_e32 v91, v31, v13
	v_add_f32_e32 v2, v45, v2
	v_fma_f32 v45, v46, s17, -v81
	v_mul_f32_e32 v63, 0xbf763a35, v91
	v_add_f32_e32 v3, v45, v3
	v_add_f32_e32 v45, v12, v30
	v_sub_f32_e32 v105, v30, v12
	v_mov_b32_e32 v47, v63
	v_add_f32_e32 v49, v13, v31
	s_mov_b32 s18, 0xbe8c1d8e
	v_mul_f32_e32 v69, 0xbf763a35, v105
	v_fmac_f32_e32 v47, 0xbe8c1d8e, v45
	v_add_f32_e32 v0, v47, v0
	v_fma_f32 v47, v49, s18, -v69
	v_mul_f32_e32 v79, 0x3f06c442, v91
	v_add_f32_e32 v1, v47, v1
	v_mov_b32_e32 v47, v79
	s_mov_b32 s19, 0xbf59a7d5
	v_mul_f32_e32 v86, 0x3f06c442, v105
	v_fmac_f32_e32 v47, 0xbf59a7d5, v45
	v_sub_f32_e32 v104, v25, v19
	v_add_f32_e32 v2, v47, v2
	v_fma_f32 v47, v49, s19, -v86
	v_mul_f32_e32 v67, 0xbf4c4adb, v104
	v_add_f32_e32 v3, v47, v3
	v_add_f32_e32 v47, v18, v24
	v_sub_f32_e32 v108, v24, v18
	v_mov_b32_e32 v50, v67
	v_add_f32_e32 v51, v19, v25
	v_mul_f32_e32 v74, 0xbf4c4adb, v108
	v_fmac_f32_e32 v50, 0xbf1a4643, v47
	v_add_f32_e32 v0, v50, v0
	v_fma_f32 v50, v51, s16, -v74
	v_mul_f32_e32 v84, 0x3f763a35, v104
	v_add_f32_e32 v1, v50, v1
	v_mov_b32_e32 v50, v84
	v_mul_f32_e32 v90, 0x3f763a35, v108
	v_fmac_f32_e32 v50, 0xbe8c1d8e, v47
	v_sub_f32_e32 v107, v27, v17
	v_add_f32_e32 v2, v50, v2
	v_fma_f32 v50, v51, s18, -v90
	v_mul_f32_e32 v71, 0xbf06c442, v107
	v_add_f32_e32 v3, v50, v3
	v_add_f32_e32 v50, v16, v26
	v_sub_f32_e32 v111, v26, v16
	v_mov_b32_e32 v52, v71
	v_add_f32_e32 v53, v17, v27
	v_mul_f32_e32 v78, 0xbf06c442, v111
	v_fmac_f32_e32 v52, 0xbf59a7d5, v50
	v_add_f32_e32 v0, v52, v0
	v_fma_f32 v52, v53, s19, -v78
	v_mul_f32_e32 v88, 0x3f65296c, v107
	v_add_f32_e32 v1, v52, v1
	v_mov_b32_e32 v52, v88
	v_mul_f32_e32 v101, 0x3f65296c, v111
	v_fmac_f32_e32 v52, 0x3ee437d1, v50
	v_sub_f32_e32 v109, v21, v23
	v_add_f32_e32 v92, v52, v2
	v_fma_f32 v2, v53, s15, -v101
	v_mul_f32_e32 v75, 0xbe3c28d5, v109
	v_add_f32_e32 v93, v2, v3
	v_add_f32_e32 v52, v22, v20
	v_sub_f32_e32 v110, v20, v22
	v_mov_b32_e32 v2, v75
	v_add_f32_e32 v54, v23, v21
	v_mul_f32_e32 v83, 0xbe3c28d5, v110
	v_fmac_f32_e32 v2, 0xbf7ba420, v52
	v_add_f32_e32 v2, v2, v0
	v_fma_f32 v0, v54, s17, -v83
	v_mul_f32_e32 v94, 0x3eb8f4ab, v109
	v_add_f32_e32 v3, v0, v1
	v_mul_f32_e32 v106, 0x3eb8f4ab, v110
	v_mov_b32_e32 v0, v94
	v_fmac_f32_e32 v0, 0x3f6eb680, v52
	v_fma_f32 v1, v54, s12, -v106
	v_add_f32_e32 v0, v0, v92
	v_add_f32_e32 v1, v1, v93
	s_barrier
	s_and_saveexec_b64 s[4:5], s[0:1]
	s_cbranch_execz .LBB0_7
; %bb.6:
	v_add_f32_e32 v7, v7, v5
	v_add_f32_e32 v6, v6, v4
	;; [unrolled: 1-line block ×20, first 2 shown]
	v_mul_f32_e32 v120, 0xbf06c442, v72
	v_add_f32_e32 v17, v19, v17
	v_add_f32_e32 v16, v18, v16
	v_fma_f32 v19, v38, s19, -v120
	v_mul_f32_e32 v121, 0x3f65296c, v77
	v_add_f32_e32 v19, v19, v4
	v_fma_f32 v20, v39, s15, -v121
	v_add_f32_e32 v12, v12, v16
	v_mul_f32_e32 v122, 0xbf7ee86f, v82
	v_add_f32_e32 v19, v20, v19
	v_add_f32_e32 v13, v13, v17
	;; [unrolled: 1-line block ×3, first 2 shown]
	v_fma_f32 v14, v41, s14, -v122
	v_mul_f32_e32 v123, 0x3f4c4adb, v87
	v_add_f32_e32 v13, v15, v13
	v_add_f32_e32 v14, v14, v19
	v_fma_f32 v15, v43, s16, -v123
	v_mul_f32_e32 v124, 0xbeb8f4ab, v91
	v_add_f32_e32 v14, v15, v14
	v_fma_f32 v15, v45, s12, -v124
	v_add_f32_e32 v8, v8, v12
	v_mul_f32_e32 v126, 0xbe3c28d5, v104
	v_add_f32_e32 v14, v15, v14
	v_add_f32_e32 v9, v9, v13
	;; [unrolled: 1-line block ×3, first 2 shown]
	v_fma_f32 v8, v47, s17, -v126
	v_mul_f32_e32 v127, 0x3f2c7751, v107
	v_add_f32_e32 v11, v11, v9
	v_add_f32_e32 v8, v8, v14
	v_fma_f32 v9, v50, s13, -v127
	v_mul_f32_e32 v128, 0xbf763a35, v109
	v_add_f32_e32 v8, v9, v8
	v_fma_f32 v12, v52, s18, -v128
	v_add_f32_e32 v10, v36, v10
	v_mul_f32_e32 v36, 0xbf4c4adb, v80
	v_add_f32_e32 v8, v12, v8
	v_add_f32_e32 v11, v37, v11
	v_mov_b32_e32 v12, v36
	v_mul_f32_e32 v37, 0x3f763a35, v85
	v_fmac_f32_e32 v12, 0xbf1a4643, v40
	v_mov_b32_e32 v13, v37
	v_add_f32_e32 v12, v12, v5
	v_fmac_f32_e32 v13, 0xbe8c1d8e, v42
	v_mul_f32_e32 v129, 0xbeb8f4ab, v89
	v_add_f32_e32 v12, v13, v12
	v_mov_b32_e32 v13, v129
	v_fmac_f32_e32 v13, 0x3f6eb680, v44
	v_mul_f32_e32 v130, 0xbf06c442, v97
	v_add_f32_e32 v12, v13, v12
	v_mov_b32_e32 v13, v130
	;; [unrolled: 4-line block ×5, first 2 shown]
	v_mul_f32_e32 v92, 0xbe3c28d5, v80
	v_fmac_f32_e32 v13, 0xbf7ba420, v53
	v_mul_f32_e32 v134, 0xbf4c4adb, v72
	v_mov_b32_e32 v93, v92
	v_add_f32_e32 v12, v13, v12
	v_fma_f32 v13, v38, s16, -v134
	v_mul_f32_e32 v135, 0x3f763a35, v77
	v_fmac_f32_e32 v93, 0xbf7ba420, v40
	v_add_f32_e32 v13, v13, v4
	v_fma_f32 v14, v39, s18, -v135
	v_mul_f32_e32 v136, 0xbeb8f4ab, v82
	v_add_f32_e32 v95, v93, v5
	v_mul_f32_e32 v93, 0x3eb8f4ab, v85
	v_add_f32_e32 v13, v14, v13
	v_fma_f32 v14, v41, s12, -v136
	v_mul_f32_e32 v137, 0xbf06c442, v87
	v_mov_b32_e32 v96, v93
	v_add_f32_e32 v13, v14, v13
	v_fma_f32 v14, v43, s19, -v137
	v_mul_f32_e32 v138, 0x3f7ee86f, v91
	v_fmac_f32_e32 v96, 0x3f6eb680, v42
	v_add_f32_e32 v13, v14, v13
	v_fma_f32 v14, v45, s14, -v138
	v_mul_f32_e32 v139, 0xbf2c7751, v104
	v_add_f32_e32 v96, v96, v95
	v_mul_f32_e32 v95, 0xbf06c442, v89
	v_add_f32_e32 v13, v14, v13
	v_fma_f32 v14, v47, s13, -v139
	v_mul_f32_e32 v140, 0xbe3c28d5, v107
	v_mov_b32_e32 v98, v95
	v_add_f32_e32 v13, v14, v13
	v_fma_f32 v14, v50, s17, -v140
	v_mul_f32_e32 v141, 0x3f65296c, v110
	v_fmac_f32_e32 v98, 0xbf59a7d5, v44
	v_add_f32_e32 v14, v14, v13
	v_mov_b32_e32 v13, v141
	v_add_f32_e32 v98, v98, v96
	v_mul_f32_e32 v96, 0x3f2c7751, v97
	v_fmac_f32_e32 v13, 0x3ee437d1, v54
	v_mul_f32_e32 v142, 0x3f65296c, v109
	v_mov_b32_e32 v99, v96
	v_add_f32_e32 v13, v13, v12
	v_fma_f32 v12, v52, s15, -v142
	v_mul_f32_e32 v143, 0xbf763a35, v80
	v_fmac_f32_e32 v99, 0x3f3d2fb0, v46
	v_add_f32_e32 v12, v12, v14
	v_mov_b32_e32 v14, v143
	v_mul_f32_e32 v144, 0x3f06c442, v85
	v_add_f32_e32 v99, v99, v98
	v_mul_f32_e32 v98, 0xbf4c4adb, v105
	v_fmac_f32_e32 v14, 0xbe8c1d8e, v40
	v_mov_b32_e32 v15, v144
	v_mov_b32_e32 v102, v98
	v_add_f32_e32 v14, v14, v5
	v_fmac_f32_e32 v15, 0xbf59a7d5, v42
	v_mul_f32_e32 v145, 0x3f2c7751, v89
	v_fmac_f32_e32 v102, 0xbf1a4643, v49
	v_add_f32_e32 v14, v15, v14
	v_mov_b32_e32 v15, v145
	v_add_f32_e32 v102, v102, v99
	v_mul_f32_e32 v99, 0x3f65296c, v108
	v_fmac_f32_e32 v15, 0x3f3d2fb0, v44
	v_mul_f32_e32 v146, 0xbf65296c, v97
	v_mov_b32_e32 v103, v99
	v_add_f32_e32 v14, v15, v14
	v_mov_b32_e32 v15, v146
	v_fmac_f32_e32 v103, 0x3ee437d1, v51
	v_fmac_f32_e32 v15, 0x3ee437d1, v46
	v_mul_f32_e32 v147, 0xbe3c28d5, v105
	v_add_f32_e32 v103, v103, v102
	v_mul_f32_e32 v102, 0xbf763a35, v111
	v_add_f32_e32 v14, v15, v14
	v_mov_b32_e32 v15, v147
	v_mov_b32_e32 v112, v102
	v_fmac_f32_e32 v15, 0xbf7ba420, v49
	v_mul_f32_e32 v148, 0x3f7ee86f, v108
	v_fmac_f32_e32 v112, 0xbe8c1d8e, v53
	v_add_f32_e32 v14, v15, v14
	v_mov_b32_e32 v15, v148
	v_add_f32_e32 v112, v112, v103
	v_mul_f32_e32 v103, 0xbe3c28d5, v72
	v_fmac_f32_e32 v15, 0x3dbcf732, v51
	v_mul_f32_e32 v149, 0xbeb8f4ab, v111
	v_fma_f32 v32, v38, s17, -v103
	v_mul_f32_e32 v33, 0x3eb8f4ab, v77
	v_add_f32_e32 v14, v15, v14
	v_mov_b32_e32 v15, v149
	v_add_f32_e32 v32, v32, v4
	v_fma_f32 v34, v39, s12, -v33
	v_fmac_f32_e32 v15, 0x3f6eb680, v53
	v_mul_f32_e32 v150, 0xbf763a35, v72
	v_add_f32_e32 v32, v34, v32
	v_mul_f32_e32 v34, 0xbf06c442, v82
	v_add_f32_e32 v14, v15, v14
	v_fma_f32 v15, v38, s18, -v150
	v_mul_f32_e32 v151, 0x3f06c442, v77
	v_fma_f32 v35, v41, s19, -v34
	v_mul_f32_e32 v28, 0x3f2c7751, v87
	v_add_f32_e32 v15, v15, v4
	v_fma_f32 v16, v39, s19, -v151
	v_mul_f32_e32 v152, 0x3f2c7751, v82
	v_add_f32_e32 v35, v35, v32
	;; [unrolled: 3-line block ×4, first 2 shown]
	v_fma_f32 v30, v45, s16, -v29
	v_add_f32_e32 v15, v16, v15
	v_fma_f32 v16, v43, s15, -v153
	v_mul_f32_e32 v154, 0xbe3c28d5, v91
	v_add_f32_e32 v7, v30, v7
	v_mul_f32_e32 v30, 0x3f65296c, v104
	v_add_f32_e32 v15, v16, v15
	v_fma_f32 v16, v45, s17, -v154
	v_mul_f32_e32 v155, 0x3f7ee86f, v104
	v_fma_f32 v35, v47, s15, -v30
	v_mul_f32_e32 v26, 0xbf763a35, v107
	v_add_f32_e32 v15, v16, v15
	v_fma_f32 v16, v47, s14, -v155
	v_mul_f32_e32 v156, 0xbeb8f4ab, v107
	v_mul_f32_e32 v32, 0x3f7ee86f, v110
	v_add_f32_e32 v35, v35, v7
	v_fma_f32 v6, v50, s18, -v26
	v_mul_f32_e32 v27, 0x3f7ee86f, v109
	v_add_f32_e32 v15, v16, v15
	v_fma_f32 v16, v50, s12, -v156
	v_mul_f32_e32 v157, 0xbf4c4adb, v110
	v_mov_b32_e32 v7, v32
	v_add_f32_e32 v6, v6, v35
	v_fma_f32 v31, v52, s14, -v27
	v_add_f32_e32 v16, v16, v15
	v_mov_b32_e32 v15, v157
	v_fmac_f32_e32 v7, 0x3dbcf732, v54
	v_add_f32_e32 v6, v31, v6
	v_mul_f32_e32 v31, 0xbf06c442, v80
	v_fmac_f32_e32 v15, 0xbf1a4643, v54
	v_mul_f32_e32 v158, 0xbf4c4adb, v109
	v_add_f32_e32 v7, v7, v112
	v_mov_b32_e32 v35, v31
	v_mul_f32_e32 v112, 0x3f65296c, v85
	v_add_f32_e32 v15, v15, v14
	v_fma_f32 v14, v52, s16, -v158
	v_mul_f32_e32 v159, 0xbf7ee86f, v80
	v_fmac_f32_e32 v35, 0xbf59a7d5, v40
	v_mov_b32_e32 v113, v112
	v_add_f32_e32 v14, v14, v16
	v_mov_b32_e32 v16, v159
	v_mul_f32_e32 v160, 0xbe3c28d5, v85
	v_add_f32_e32 v35, v35, v5
	v_fmac_f32_e32 v113, 0x3ee437d1, v42
	v_fmac_f32_e32 v16, 0x3dbcf732, v40
	v_mov_b32_e32 v17, v160
	v_add_f32_e32 v35, v113, v35
	v_mul_f32_e32 v113, 0xbf7ee86f, v89
	v_add_f32_e32 v16, v16, v5
	v_fmac_f32_e32 v17, 0xbf7ba420, v42
	v_mul_f32_e32 v161, 0x3f763a35, v89
	v_mov_b32_e32 v22, v113
	v_add_f32_e32 v16, v17, v16
	v_mov_b32_e32 v17, v161
	v_fmac_f32_e32 v22, 0x3dbcf732, v44
	v_fmac_f32_e32 v17, 0xbe8c1d8e, v44
	v_mul_f32_e32 v162, 0x3eb8f4ab, v97
	v_add_f32_e32 v22, v22, v35
	v_mul_f32_e32 v35, 0x3f4c4adb, v97
	v_add_f32_e32 v16, v17, v16
	v_mov_b32_e32 v17, v162
	v_mov_b32_e32 v23, v35
	v_fmac_f32_e32 v17, 0x3f6eb680, v46
	v_mul_f32_e32 v163, 0xbf65296c, v105
	v_fmac_f32_e32 v23, 0xbf1a4643, v46
	v_mul_f32_e32 v114, 0xbeb8f4ab, v105
	v_add_f32_e32 v16, v17, v16
	v_mov_b32_e32 v17, v163
	v_add_f32_e32 v22, v23, v22
	v_mov_b32_e32 v23, v114
	v_fmac_f32_e32 v17, 0x3ee437d1, v49
	v_mul_f32_e32 v164, 0xbf06c442, v108
	v_fmac_f32_e32 v23, 0x3f6eb680, v49
	v_mul_f32_e32 v118, 0xbe3c28d5, v108
	v_add_f32_e32 v16, v17, v16
	v_mov_b32_e32 v17, v164
	v_add_f32_e32 v22, v23, v22
	v_mov_b32_e32 v23, v118
	v_mul_f32_e32 v119, 0x3f2c7751, v111
	v_fmac_f32_e32 v17, 0xbf59a7d5, v51
	v_mul_f32_e32 v165, 0x3f4c4adb, v111
	v_fmac_f32_e32 v23, 0xbf7ba420, v51
	v_mov_b32_e32 v18, v119
	v_mul_f32_e32 v125, 0xbf763a35, v110
	v_add_f32_e32 v16, v17, v16
	v_mov_b32_e32 v17, v165
	v_add_f32_e32 v22, v23, v22
	v_fmac_f32_e32 v18, 0x3f3d2fb0, v53
	v_mov_b32_e32 v9, v125
	v_fmac_f32_e32 v17, 0xbf1a4643, v53
	v_mul_f32_e32 v166, 0xbf7ee86f, v72
	v_add_f32_e32 v18, v18, v22
	v_fmac_f32_e32 v9, 0xbe8c1d8e, v54
	v_add_f32_e32 v16, v17, v16
	v_fma_f32 v17, v38, s14, -v166
	v_mul_f32_e32 v167, 0xbe3c28d5, v77
	v_add_f32_e32 v9, v9, v18
	v_add_f32_e32 v17, v17, v4
	v_fma_f32 v18, v39, s17, -v167
	v_mul_f32_e32 v168, 0x3f763a35, v82
	v_add_f32_e32 v17, v18, v17
	v_fma_f32 v18, v41, s18, -v168
	v_mul_f32_e32 v169, 0x3eb8f4ab, v87
	;; [unrolled: 3-line block ×6, first 2 shown]
	v_add_f32_e32 v18, v18, v17
	v_mov_b32_e32 v17, v173
	v_fmac_f32_e32 v17, 0x3f3d2fb0, v54
	v_mul_f32_e32 v174, 0x3f2c7751, v109
	v_add_f32_e32 v17, v17, v16
	v_fma_f32 v16, v52, s13, -v174
	v_mul_f32_e32 v80, 0xbf65296c, v80
	v_add_f32_e32 v16, v16, v18
	v_mov_b32_e32 v18, v80
	v_mul_f32_e32 v85, 0xbf4c4adb, v85
	v_fmac_f32_e32 v18, 0x3ee437d1, v40
	v_mov_b32_e32 v19, v85
	v_add_f32_e32 v18, v18, v5
	v_fmac_f32_e32 v19, 0xbf1a4643, v42
	v_mul_f32_e32 v89, 0x3e3c28d5, v89
	v_add_f32_e32 v18, v19, v18
	v_mov_b32_e32 v19, v89
	v_fmac_f32_e32 v19, 0xbf7ba420, v44
	v_mul_f32_e32 v97, 0x3f763a35, v97
	v_add_f32_e32 v18, v19, v18
	v_mov_b32_e32 v19, v97
	;; [unrolled: 4-line block ×5, first 2 shown]
	v_fmac_f32_e32 v19, 0x3dbcf732, v53
	v_mul_f32_e32 v72, 0xbf65296c, v72
	v_add_f32_e32 v18, v19, v18
	v_fma_f32 v19, v38, s15, -v72
	v_mul_f32_e32 v77, 0xbf4c4adb, v77
	v_add_f32_e32 v19, v19, v4
	v_fma_f32 v20, v39, s16, -v77
	;; [unrolled: 3-line block ×7, first 2 shown]
	v_mul_f32_e32 v110, 0xbf06c442, v110
	v_add_f32_e32 v20, v20, v19
	v_mov_b32_e32 v19, v110
	v_fmac_f32_e32 v19, 0xbf59a7d5, v54
	v_mul_f32_e32 v109, 0xbf06c442, v109
	v_add_f32_e32 v19, v19, v18
	v_fma_f32 v18, v52, s19, -v109
	v_add_f32_e32 v18, v18, v20
	v_mul_f32_e32 v20, 0x3f3d2fb0, v40
	v_mul_f32_e32 v22, 0x3f3d2fb0, v38
	v_add_f32_e32 v20, v66, v20
	v_mul_f32_e32 v21, 0x3dbcf732, v42
	v_sub_f32_e32 v22, v22, v61
	v_mul_f32_e32 v23, 0x3dbcf732, v39
	v_add_f32_e32 v21, v70, v21
	v_add_f32_e32 v20, v20, v5
	v_sub_f32_e32 v23, v23, v64
	v_add_f32_e32 v22, v22, v4
	v_add_f32_e32 v20, v21, v20
	v_mul_f32_e32 v21, 0xbf1a4643, v44
	v_add_f32_e32 v22, v23, v22
	v_mul_f32_e32 v23, 0xbf1a4643, v41
	v_add_f32_e32 v21, v76, v21
	v_sub_f32_e32 v23, v23, v68
	v_add_f32_e32 v20, v21, v20
	v_mul_f32_e32 v21, 0xbf7ba420, v46
	v_add_f32_e32 v22, v23, v22
	v_mul_f32_e32 v23, 0xbf7ba420, v43
	v_add_f32_e32 v21, v81, v21
	v_sub_f32_e32 v23, v23, v73
	;; [unrolled: 6-line block ×6, first 2 shown]
	v_add_f32_e32 v21, v21, v20
	v_add_f32_e32 v20, v23, v22
	v_mul_f32_e32 v22, 0x3f6eb680, v40
	v_mul_f32_e32 v24, 0x3f6eb680, v38
	v_add_f32_e32 v22, v57, v22
	v_mul_f32_e32 v23, 0x3f3d2fb0, v42
	v_sub_f32_e32 v24, v24, v55
	v_mul_f32_e32 v25, 0x3f3d2fb0, v39
	v_add_f32_e32 v23, v59, v23
	v_add_f32_e32 v22, v22, v5
	v_sub_f32_e32 v25, v25, v56
	v_add_f32_e32 v24, v24, v4
	v_add_f32_e32 v22, v23, v22
	v_mul_f32_e32 v23, 0x3ee437d1, v44
	v_add_f32_e32 v24, v25, v24
	v_mul_f32_e32 v25, 0x3ee437d1, v41
	v_add_f32_e32 v23, v62, v23
	v_sub_f32_e32 v25, v25, v58
	v_add_f32_e32 v22, v23, v22
	v_mul_f32_e32 v23, 0x3dbcf732, v46
	v_add_f32_e32 v24, v25, v24
	v_mul_f32_e32 v25, 0x3dbcf732, v43
	v_add_f32_e32 v23, v65, v23
	v_sub_f32_e32 v25, v25, v60
	;; [unrolled: 6-line block ×6, first 2 shown]
	v_add_f32_e32 v23, v23, v22
	v_add_f32_e32 v22, v25, v24
	v_fma_f32 v24, v40, s17, -v92
	v_add_f32_e32 v24, v24, v5
	v_fma_f32 v25, v42, s12, -v93
	;; [unrolled: 2-line block ×7, first 2 shown]
	v_fmac_f32_e32 v103, 0xbf7ba420, v38
	v_add_f32_e32 v24, v25, v24
	v_add_f32_e32 v25, v103, v4
	v_fmac_f32_e32 v33, 0x3f6eb680, v39
	v_add_f32_e32 v25, v33, v25
	v_fmac_f32_e32 v34, 0xbf59a7d5, v41
	;; [unrolled: 2-line block ×6, first 2 shown]
	v_add_f32_e32 v26, v26, v25
	v_fma_f32 v25, v54, s14, -v32
	v_fmac_f32_e32 v27, 0x3dbcf732, v52
	v_add_f32_e32 v25, v25, v24
	v_add_f32_e32 v24, v27, v26
	v_fma_f32 v26, v40, s19, -v31
	v_add_f32_e32 v26, v26, v5
	v_fma_f32 v27, v42, s15, -v112
	;; [unrolled: 2-line block ×7, first 2 shown]
	v_fmac_f32_e32 v120, 0xbf59a7d5, v38
	v_add_f32_e32 v26, v27, v26
	v_add_f32_e32 v27, v120, v4
	v_fmac_f32_e32 v121, 0x3ee437d1, v39
	v_add_f32_e32 v27, v121, v27
	v_fmac_f32_e32 v122, 0x3dbcf732, v41
	;; [unrolled: 2-line block ×5, first 2 shown]
	v_add_f32_e32 v28, v126, v27
	v_fma_f32 v27, v54, s18, -v125
	v_fmac_f32_e32 v127, 0x3f3d2fb0, v50
	v_add_f32_e32 v27, v27, v26
	v_add_f32_e32 v26, v127, v28
	v_fma_f32 v28, v40, s16, -v36
	v_fma_f32 v30, v40, s18, -v143
	;; [unrolled: 1-line block ×3, first 2 shown]
	v_add_f32_e32 v28, v28, v5
	v_fma_f32 v29, v42, s18, -v37
	v_add_f32_e32 v30, v30, v5
	v_fma_f32 v31, v42, s19, -v144
	v_add_f32_e32 v32, v32, v5
	v_fma_f32 v33, v42, s17, -v160
	v_add_f32_e32 v28, v29, v28
	v_fma_f32 v29, v44, s12, -v129
	v_add_f32_e32 v30, v31, v30
	v_fma_f32 v31, v44, s13, -v145
	v_add_f32_e32 v32, v33, v32
	v_fma_f32 v33, v44, s18, -v161
	v_add_f32_e32 v28, v29, v28
	v_fma_f32 v29, v46, s19, -v130
	v_add_f32_e32 v30, v31, v30
	v_fma_f32 v31, v46, s15, -v146
	v_add_f32_e32 v32, v33, v32
	v_fma_f32 v33, v46, s12, -v162
	v_add_f32_e32 v28, v29, v28
	v_fma_f32 v29, v49, s14, -v131
	v_add_f32_e32 v30, v31, v30
	v_fma_f32 v31, v49, s17, -v147
	v_add_f32_e32 v32, v33, v32
	v_fma_f32 v33, v49, s15, -v163
	v_add_f32_e32 v28, v29, v28
	v_fma_f32 v29, v51, s13, -v132
	v_add_f32_e32 v30, v31, v30
	v_fma_f32 v31, v51, s14, -v148
	v_add_f32_e32 v32, v33, v32
	v_fma_f32 v33, v51, s19, -v164
	v_fma_f32 v34, v40, s15, -v80
	v_add_f32_e32 v28, v29, v28
	v_fma_f32 v29, v53, s17, -v133
	v_add_f32_e32 v30, v31, v30
	v_fma_f32 v31, v53, s12, -v149
	v_add_f32_e32 v32, v33, v32
	v_fma_f32 v33, v53, s16, -v165
	v_add_f32_e32 v5, v34, v5
	v_fma_f32 v34, v42, s16, -v85
	v_add_f32_e32 v28, v29, v28
	v_fma_f32 v29, v54, s15, -v141
	v_fmac_f32_e32 v134, 0xbf1a4643, v38
	v_add_f32_e32 v30, v31, v30
	v_fma_f32 v31, v54, s16, -v157
	v_fmac_f32_e32 v150, 0xbe8c1d8e, v38
	v_add_f32_e32 v32, v33, v32
	;; [unrolled: 3-line block ×4, first 2 shown]
	v_add_f32_e32 v28, v134, v4
	v_fmac_f32_e32 v135, 0xbe8c1d8e, v39
	v_add_f32_e32 v31, v31, v30
	v_add_f32_e32 v30, v150, v4
	v_fmac_f32_e32 v151, 0xbf59a7d5, v39
	v_add_f32_e32 v33, v33, v32
	v_add_f32_e32 v32, v166, v4
	v_fmac_f32_e32 v167, 0xbf7ba420, v39
	v_add_f32_e32 v5, v34, v5
	v_fma_f32 v34, v46, s18, -v97
	v_add_f32_e32 v4, v72, v4
	v_fmac_f32_e32 v77, 0xbf1a4643, v39
	v_add_f32_e32 v28, v135, v28
	v_fmac_f32_e32 v136, 0x3f6eb680, v41
	v_add_f32_e32 v30, v151, v30
	v_fmac_f32_e32 v152, 0x3f3d2fb0, v41
	v_add_f32_e32 v32, v167, v32
	v_fmac_f32_e32 v168, 0xbe8c1d8e, v41
	v_add_f32_e32 v5, v34, v5
	v_fma_f32 v34, v49, s13, -v105
	v_add_f32_e32 v4, v77, v4
	v_fmac_f32_e32 v82, 0xbf7ba420, v41
	v_add_f32_e32 v28, v136, v28
	v_fmac_f32_e32 v137, 0xbf59a7d5, v43
	v_add_f32_e32 v30, v152, v30
	v_fmac_f32_e32 v153, 0x3ee437d1, v43
	v_add_f32_e32 v32, v168, v32
	v_fmac_f32_e32 v169, 0x3f6eb680, v43
	v_add_f32_e32 v5, v34, v5
	;; [unrolled: 10-line block ×5, first 2 shown]
	v_add_f32_e32 v4, v104, v4
	v_fmac_f32_e32 v107, 0x3dbcf732, v50
	v_mul_lo_u16_e32 v34, 17, v116
	v_fmac_f32_e32 v128, 0xbe8c1d8e, v52
	v_add_f32_e32 v28, v140, v28
	v_fmac_f32_e32 v142, 0x3ee437d1, v52
	v_add_f32_e32 v30, v156, v30
	;; [unrolled: 2-line block ×4, first 2 shown]
	v_fmac_f32_e32 v109, 0xbf59a7d5, v52
	v_add_lshl_u32 v34, v48, v34, 3
	v_add_f32_e32 v26, v128, v26
	v_add_f32_e32 v28, v142, v28
	;; [unrolled: 1-line block ×5, first 2 shown]
	ds_write2_b64 v34, v[10:11], v[22:23] offset1:1
	ds_write2_b64 v34, v[20:21], v[18:19] offset0:2 offset1:3
	ds_write2_b64 v34, v[16:17], v[14:15] offset0:4 offset1:5
	;; [unrolled: 1-line block ×7, first 2 shown]
	ds_write_b64 v34, v[2:3] offset:128
.LBB0_7:
	s_or_b64 exec, exec, s[4:5]
	s_movk_i32 s12, 0xaa
	v_add_co_u32_e32 v60, vcc, s12, v116
	s_movk_i32 s12, 0xff
	v_add_co_u32_e32 v52, vcc, 0x55, v116
	;; [unrolled: 2-line block ×3, first 2 shown]
	s_movk_i32 s12, 0x154
	v_mul_lo_u16_sdwa v4, v116, s13 dst_sel:DWORD dst_unused:UNUSED_PAD src0_sel:BYTE_0 src1_sel:DWORD
	v_mul_lo_u16_sdwa v5, v52, s13 dst_sel:DWORD dst_unused:UNUSED_PAD src0_sel:BYTE_0 src1_sel:DWORD
	;; [unrolled: 1-line block ×3, first 2 shown]
	s_mov_b32 s13, 0xf0f1
	v_add_co_u32_e32 v20, vcc, s12, v116
	v_mul_u32_u24_sdwa v21, v20, s13 dst_sel:DWORD dst_unused:UNUSED_PAD src0_sel:WORD_0 src1_sel:DWORD
	v_lshrrev_b32_e32 v65, 20, v21
	v_lshrrev_b16_e32 v51, 12, v4
	v_mul_lo_u16_e32 v21, 17, v65
	v_mul_lo_u16_e32 v4, 17, v51
	v_lshrrev_b16_e32 v58, 12, v5
	v_lshrrev_b16_e32 v61, 12, v14
	v_sub_u16_e32 v66, v20, v21
	v_sub_u16_e32 v57, v116, v4
	v_mov_b32_e32 v12, 4
	v_mul_lo_u16_e32 v5, 17, v58
	v_mul_lo_u16_e32 v14, 17, v61
	v_lshlrev_b16_e32 v20, 1, v66
	v_lshlrev_b32_sdwa v4, v12, v57 dst_sel:DWORD dst_unused:UNUSED_PAD src0_sel:DWORD src1_sel:BYTE_0
	v_sub_u16_e32 v59, v52, v5
	v_sub_u16_e32 v62, v60, v14
	v_lshlrev_b32_e32 v20, 3, v20
	s_load_dwordx4 s[4:7], s[6:7], 0x0
	s_waitcnt lgkmcnt(0)
	s_barrier
	global_load_dwordx4 v[8:11], v4, s[2:3]
	v_add_lshl_u32 v118, v48, v116, 3
	global_load_dwordx4 v[20:23], v20, s[2:3]
	v_lshlrev_b32_sdwa v4, v12, v59 dst_sel:DWORD dst_unused:UNUSED_PAD src0_sel:DWORD src1_sel:BYTE_0
	v_lshlrev_b32_sdwa v12, v12, v62 dst_sel:DWORD dst_unused:UNUSED_PAD src0_sel:DWORD src1_sel:BYTE_0
	global_load_dwordx4 v[4:7], v4, s[2:3]
	ds_read2_b64 v[24:27], v118 offset1:85
	global_load_dwordx4 v[16:19], v12, s[2:3]
	v_mul_u32_u24_sdwa v12, v13, s13 dst_sel:DWORD dst_unused:UNUSED_PAD src0_sel:WORD_0 src1_sel:DWORD
	v_lshrrev_b32_e32 v63, 20, v12
	v_mul_lo_u16_e32 v12, 17, v63
	v_sub_u16_e32 v64, v13, v12
	v_lshlrev_b16_e32 v12, 1, v64
	v_lshlrev_b32_e32 v12, 3, v12
	global_load_dwordx4 v[12:15], v12, s[2:3]
	v_add_u32_e32 v80, 0x800, v118
	v_add_u32_e32 v81, 0x1800, v118
	;; [unrolled: 1-line block ×3, first 2 shown]
	ds_read2_b64 v[28:31], v118 offset0:170 offset1:255
	v_add_u32_e32 v83, 0x1c00, v118
	v_add_u32_e32 v84, 0x1000, v118
	ds_read_b64 v[49:50], v118 offset:9520
	ds_read2_b64 v[32:35], v80 offset0:84 offset1:169
	ds_read2_b64 v[36:39], v81 offset0:82 offset1:167
	;; [unrolled: 1-line block ×5, first 2 shown]
	v_mul_u32_u24_e32 v51, 51, v51
	v_add_u32_sdwa v51, v51, v57 dst_sel:DWORD dst_unused:UNUSED_PAD src0_sel:DWORD src1_sel:BYTE_0
	v_add_lshl_u32 v120, v48, v51, 3
	s_waitcnt vmcnt(0) lgkmcnt(0)
	s_barrier
	s_movk_i32 s12, 0xffcd
	v_lshl_add_u32 v205, v116, 3, v117
	v_mul_f32_e32 v67, v35, v9
	v_mul_f32_e32 v68, v34, v9
	v_fma_f32 v67, v34, v8, -v67
	v_mul_f32_e32 v69, v37, v11
	v_fmac_f32_e32 v68, v35, v8
	v_fma_f32 v69, v36, v10, -v69
	v_mul_f32_e32 v70, v36, v11
	v_mul_f32_e32 v34, v43, v17
	v_fma_f32 v76, v42, v16, -v34
	v_mul_f32_e32 v35, v45, v19
	v_fma_f32 v77, v44, v18, -v35
	v_mul_f32_e32 v86, v55, v21
	v_add_f32_e32 v35, v67, v69
	v_fmac_f32_e32 v70, v37, v10
	v_mul_f32_e32 v34, v54, v13
	v_fma_f32 v78, v53, v12, -v34
	v_mul_f32_e32 v53, v53, v13
	v_mul_f32_e32 v34, v47, v15
	v_fmac_f32_e32 v53, v54, v12
	v_fma_f32 v54, v46, v14, -v34
	v_mul_f32_e32 v34, v56, v21
	v_fma_f32 v85, v55, v20, -v34
	v_mul_f32_e32 v34, v50, v23
	v_fmac_f32_e32 v86, v56, v20
	v_fma_f32 v56, v49, v22, -v34
	v_add_f32_e32 v34, v24, v67
	v_fma_f32 v24, -0.5, v35, v24
	v_mul_f32_e32 v71, v41, v5
	v_mul_f32_e32 v72, v40, v5
	v_mul_f32_e32 v73, v39, v7
	v_sub_f32_e32 v35, v68, v70
	v_mov_b32_e32 v36, v24
	v_add_f32_e32 v37, v68, v70
	v_mul_f32_e32 v74, v38, v7
	v_fma_f32 v71, v40, v4, -v71
	v_fmac_f32_e32 v72, v41, v4
	v_fma_f32 v41, v38, v6, -v73
	v_fmac_f32_e32 v36, 0x3f5db3d7, v35
	v_fmac_f32_e32 v24, 0xbf5db3d7, v35
	v_add_f32_e32 v35, v25, v68
	v_fma_f32 v25, -0.5, v37, v25
	v_fmac_f32_e32 v74, v39, v6
	v_sub_f32_e32 v38, v67, v69
	v_mov_b32_e32 v37, v25
	v_add_f32_e32 v39, v71, v41
	v_fmac_f32_e32 v37, 0xbf5db3d7, v38
	v_fmac_f32_e32 v25, 0x3f5db3d7, v38
	v_add_f32_e32 v38, v26, v71
	v_fma_f32 v26, -0.5, v39, v26
	v_mul_f32_e32 v73, v42, v17
	v_sub_f32_e32 v39, v72, v74
	v_mov_b32_e32 v40, v26
	v_add_f32_e32 v42, v72, v74
	v_fmac_f32_e32 v40, 0x3f5db3d7, v39
	v_fmac_f32_e32 v26, 0xbf5db3d7, v39
	v_add_f32_e32 v39, v27, v72
	v_fmac_f32_e32 v27, -0.5, v42
	v_mul_f32_e32 v75, v44, v19
	v_fmac_f32_e32 v73, v43, v16
	v_add_f32_e32 v38, v38, v41
	v_sub_f32_e32 v42, v71, v41
	v_mov_b32_e32 v41, v27
	v_add_f32_e32 v43, v76, v77
	v_fmac_f32_e32 v75, v45, v18
	v_fmac_f32_e32 v41, 0xbf5db3d7, v42
	;; [unrolled: 1-line block ×3, first 2 shown]
	v_add_f32_e32 v42, v28, v76
	v_fma_f32 v28, -0.5, v43, v28
	v_add_f32_e32 v34, v34, v69
	v_add_f32_e32 v35, v35, v70
	v_sub_f32_e32 v43, v73, v75
	v_mov_b32_e32 v44, v28
	v_add_f32_e32 v45, v73, v75
	v_mul_f32_e32 v79, v46, v15
	v_fmac_f32_e32 v44, 0x3f5db3d7, v43
	v_fmac_f32_e32 v28, 0xbf5db3d7, v43
	v_add_f32_e32 v43, v29, v73
	v_fma_f32 v29, -0.5, v45, v29
	ds_write2_b64 v120, v[34:35], v[36:37] offset1:17
	ds_write_b64 v120, v[24:25] offset:272
	v_mul_u32_u24_e32 v24, 51, v58
	v_fmac_f32_e32 v79, v47, v14
	v_sub_f32_e32 v46, v76, v77
	v_mov_b32_e32 v45, v29
	v_add_f32_e32 v47, v78, v54
	v_add_u32_sdwa v24, v24, v59 dst_sel:DWORD dst_unused:UNUSED_PAD src0_sel:DWORD src1_sel:BYTE_0
	v_mul_f32_e32 v87, v49, v23
	v_fmac_f32_e32 v45, 0xbf5db3d7, v46
	v_fmac_f32_e32 v29, 0x3f5db3d7, v46
	v_add_f32_e32 v46, v30, v78
	v_fma_f32 v30, -0.5, v47, v30
	v_add_lshl_u32 v121, v48, v24, 3
	v_mul_u32_u24_e32 v24, 51, v61
	v_fmac_f32_e32 v87, v50, v22
	v_sub_f32_e32 v47, v53, v79
	v_mov_b32_e32 v49, v30
	v_add_f32_e32 v50, v53, v79
	v_add_u32_sdwa v24, v24, v62 dst_sel:DWORD dst_unused:UNUSED_PAD src0_sel:DWORD src1_sel:BYTE_0
	v_fmac_f32_e32 v49, 0x3f5db3d7, v47
	v_fmac_f32_e32 v30, 0xbf5db3d7, v47
	v_add_f32_e32 v47, v31, v53
	v_fmac_f32_e32 v31, -0.5, v50
	v_add_lshl_u32 v122, v48, v24, 3
	v_mad_legacy_u16 v24, v63, 51, v64
	v_add_f32_e32 v46, v46, v54
	v_sub_f32_e32 v53, v78, v54
	v_mov_b32_e32 v50, v31
	v_add_f32_e32 v54, v85, v56
	v_add_lshl_u32 v123, v48, v24, 3
	v_mad_legacy_u16 v24, v65, 51, v66
	v_fmac_f32_e32 v50, 0xbf5db3d7, v53
	v_fmac_f32_e32 v31, 0x3f5db3d7, v53
	v_add_f32_e32 v53, v32, v85
	v_fma_f32 v32, -0.5, v54, v32
	v_add_lshl_u32 v124, v48, v24, 3
	v_add_co_u32_e32 v24, vcc, s12, v116
	v_add_f32_e32 v39, v39, v74
	v_add_f32_e32 v42, v42, v77
	;; [unrolled: 1-line block ×4, first 2 shown]
	v_sub_f32_e32 v54, v86, v87
	v_mov_b32_e32 v55, v32
	v_add_f32_e32 v67, v86, v87
	v_addc_co_u32_e64 v25, s[12:13], 0, -1, vcc
	v_cmp_gt_u16_e32 vcc, 51, v116
	v_fmac_f32_e32 v55, 0x3f5db3d7, v54
	v_fmac_f32_e32 v32, 0xbf5db3d7, v54
	v_add_f32_e32 v54, v33, v86
	v_fmac_f32_e32 v33, -0.5, v67
	ds_write2_b64 v121, v[38:39], v[40:41] offset1:17
	ds_write_b64 v121, v[26:27] offset:272
	ds_write2_b64 v122, v[42:43], v[44:45] offset1:17
	ds_write_b64 v122, v[28:29] offset:272
	;; [unrolled: 2-line block ×3, first 2 shown]
	v_cndmask_b32_e64 v50, v25, 0, vcc
	v_cndmask_b32_e32 v49, v24, v116, vcc
	v_add_f32_e32 v53, v53, v56
	v_sub_f32_e32 v67, v85, v56
	v_mov_b32_e32 v56, v33
	v_lshlrev_b64 v[24:25], 5, v[49:50]
	v_add_f32_e32 v54, v54, v87
	v_fmac_f32_e32 v56, 0xbf5db3d7, v67
	v_fmac_f32_e32 v33, 0x3f5db3d7, v67
	ds_write2_b64 v124, v[53:54], v[55:56] offset1:17
	ds_write_b64 v124, v[32:33] offset:272
	v_mov_b32_e32 v26, s3
	v_add_co_u32_e32 v32, vcc, s2, v24
	v_addc_co_u32_e32 v33, vcc, v26, v25, vcc
	s_movk_i32 s12, 0xa1
	s_waitcnt lgkmcnt(0)
	s_barrier
	global_load_dwordx4 v[28:31], v[32:33], off offset:272
	global_load_dwordx4 v[24:27], v[32:33], off offset:288
	v_mul_lo_u16_sdwa v32, v52, s12 dst_sel:DWORD dst_unused:UNUSED_PAD src0_sel:BYTE_0 src1_sel:DWORD
	v_lshrrev_b16_e32 v59, 13, v32
	v_mul_lo_u16_e32 v32, 51, v59
	v_sub_u16_e32 v79, v52, v32
	v_mov_b32_e32 v40, 5
	v_lshlrev_b32_sdwa v41, v40, v79 dst_sel:DWORD dst_unused:UNUSED_PAD src0_sel:DWORD src1_sel:BYTE_0
	global_load_dwordx4 v[36:39], v41, s[2:3] offset:272
	global_load_dwordx4 v[32:35], v41, s[2:3] offset:288
	v_mul_lo_u16_sdwa v41, v60, s12 dst_sel:DWORD dst_unused:UNUSED_PAD src0_sel:BYTE_0 src1_sel:DWORD
	v_lshrrev_b16_e32 v93, 13, v41
	v_mul_lo_u16_e32 v41, 51, v93
	v_sub_u16_e32 v94, v60, v41
	v_lshlrev_b32_sdwa v50, v40, v94 dst_sel:DWORD dst_unused:UNUSED_PAD src0_sel:DWORD src1_sel:BYTE_0
	global_load_dwordx4 v[44:47], v50, s[2:3] offset:272
	global_load_dwordx4 v[40:43], v50, s[2:3] offset:288
	ds_read2_b64 v[53:56], v118 offset1:85
	ds_read2_b64 v[61:64], v118 offset0:170 offset1:255
	ds_read2_b64 v[65:68], v82 offset0:126 offset1:211
	;; [unrolled: 1-line block ×6, first 2 shown]
	ds_read_b64 v[50:51], v118 offset:9520
	v_cmp_lt_u16_e32 vcc, 50, v116
	s_waitcnt vmcnt(0) lgkmcnt(0)
	s_barrier
	v_mul_f32_e32 v57, v64, v29
	v_fma_f32 v77, v63, v28, -v57
	v_mul_f32_e32 v57, v66, v31
	v_fma_f32 v95, v65, v30, -v57
	v_mul_f32_e32 v96, v65, v31
	v_mul_f32_e32 v57, v72, v25
	;; [unrolled: 1-line block ×3, first 2 shown]
	v_fmac_f32_e32 v96, v66, v30
	v_fma_f32 v66, v71, v24, -v57
	v_mul_f32_e32 v71, v71, v25
	v_mul_f32_e32 v57, v74, v27
	v_fmac_f32_e32 v78, v64, v28
	v_fmac_f32_e32 v71, v72, v24
	v_fma_f32 v64, v73, v26, -v57
	v_mul_f32_e32 v72, v73, v27
	v_mul_f32_e32 v57, v86, v37
	v_fmac_f32_e32 v72, v74, v26
	v_fma_f32 v74, v85, v36, -v57
	v_mul_f32_e32 v85, v85, v37
	v_mul_f32_e32 v57, v68, v39
	v_fmac_f32_e32 v85, v86, v36
	v_fma_f32 v86, v67, v38, -v57
	v_mul_f32_e32 v57, v90, v33
	v_fma_f32 v98, v89, v32, -v57
	v_mul_f32_e32 v89, v89, v33
	v_mul_f32_e32 v57, v76, v35
	v_fmac_f32_e32 v89, v90, v32
	v_fma_f32 v90, v75, v34, -v57
	v_mul_f32_e32 v57, v88, v45
	;; [unrolled: 6-line block ×3, first 2 shown]
	v_mul_f32_e32 v104, v50, v43
	v_fma_f32 v103, v91, v40, -v57
	v_mul_f32_e32 v91, v91, v41
	v_mul_f32_e32 v57, v51, v43
	v_fmac_f32_e32 v104, v51, v42
	v_add_f32_e32 v51, v95, v66
	v_fmac_f32_e32 v91, v92, v40
	v_fma_f32 v92, v50, v42, -v57
	v_fma_f32 v57, -0.5, v51, v53
	v_sub_f32_e32 v51, v78, v72
	v_mov_b32_e32 v63, v57
	v_mul_f32_e32 v97, v67, v39
	v_fmac_f32_e32 v63, 0x3f737871, v51
	v_sub_f32_e32 v58, v96, v71
	v_sub_f32_e32 v65, v77, v95
	;; [unrolled: 1-line block ×3, first 2 shown]
	v_fmac_f32_e32 v57, 0xbf737871, v51
	v_fmac_f32_e32 v63, 0x3f167918, v58
	v_add_f32_e32 v65, v65, v67
	v_fmac_f32_e32 v57, 0xbf167918, v58
	v_fmac_f32_e32 v63, 0x3e9e377a, v65
	;; [unrolled: 1-line block ×3, first 2 shown]
	v_add_f32_e32 v65, v77, v64
	v_add_f32_e32 v50, v53, v77
	v_fma_f32 v53, -0.5, v65, v53
	v_mov_b32_e32 v65, v53
	v_fmac_f32_e32 v97, v68, v38
	v_add_f32_e32 v50, v50, v95
	v_fmac_f32_e32 v65, 0xbf737871, v58
	v_sub_f32_e32 v67, v95, v77
	v_sub_f32_e32 v68, v66, v64
	v_fmac_f32_e32 v53, 0x3f737871, v58
	v_add_f32_e32 v58, v96, v71
	v_add_f32_e32 v50, v50, v66
	v_fmac_f32_e32 v65, 0x3f167918, v51
	v_add_f32_e32 v67, v67, v68
	v_fmac_f32_e32 v53, 0xbf167918, v51
	v_fma_f32 v58, -0.5, v58, v54
	v_add_f32_e32 v50, v50, v64
	v_fmac_f32_e32 v65, 0x3e9e377a, v67
	v_fmac_f32_e32 v53, 0x3e9e377a, v67
	v_sub_f32_e32 v67, v77, v64
	v_mov_b32_e32 v64, v58
	v_mul_f32_e32 v102, v69, v47
	v_fmac_f32_e32 v64, 0xbf737871, v67
	v_sub_f32_e32 v68, v95, v66
	v_sub_f32_e32 v66, v78, v96
	;; [unrolled: 1-line block ×3, first 2 shown]
	v_fmac_f32_e32 v58, 0x3f737871, v67
	v_fmac_f32_e32 v64, 0xbf167918, v68
	v_add_f32_e32 v66, v66, v69
	v_fmac_f32_e32 v58, 0x3f167918, v68
	v_fmac_f32_e32 v64, 0x3e9e377a, v66
	;; [unrolled: 1-line block ×3, first 2 shown]
	v_add_f32_e32 v66, v78, v72
	v_add_f32_e32 v51, v54, v78
	v_fma_f32 v54, -0.5, v66, v54
	v_mov_b32_e32 v66, v54
	v_fmac_f32_e32 v102, v70, v46
	v_fmac_f32_e32 v66, 0x3f737871, v68
	v_sub_f32_e32 v69, v96, v78
	v_sub_f32_e32 v70, v71, v72
	v_fmac_f32_e32 v54, 0xbf737871, v68
	v_mul_f32_e32 v75, v75, v35
	v_fmac_f32_e32 v66, 0xbf167918, v67
	v_add_f32_e32 v69, v69, v70
	v_fmac_f32_e32 v54, 0x3f167918, v67
	v_add_f32_e32 v68, v86, v98
	;; [unrolled: 2-line block ×3, first 2 shown]
	v_fmac_f32_e32 v66, 0x3e9e377a, v69
	v_fmac_f32_e32 v54, 0x3e9e377a, v69
	v_fma_f32 v69, -0.5, v68, v55
	v_add_f32_e32 v51, v51, v71
	v_sub_f32_e32 v68, v85, v75
	v_mov_b32_e32 v71, v69
	v_add_f32_e32 v51, v51, v72
	v_fmac_f32_e32 v71, 0x3f737871, v68
	v_sub_f32_e32 v70, v97, v89
	v_sub_f32_e32 v72, v74, v86
	;; [unrolled: 1-line block ×3, first 2 shown]
	v_fmac_f32_e32 v69, 0xbf737871, v68
	v_fmac_f32_e32 v71, 0x3f167918, v70
	v_add_f32_e32 v72, v72, v73
	v_fmac_f32_e32 v69, 0xbf167918, v70
	v_fmac_f32_e32 v71, 0x3e9e377a, v72
	;; [unrolled: 1-line block ×3, first 2 shown]
	v_add_f32_e32 v72, v74, v90
	v_add_f32_e32 v67, v55, v74
	v_fma_f32 v55, -0.5, v72, v55
	v_mov_b32_e32 v73, v55
	v_fmac_f32_e32 v73, 0xbf737871, v70
	v_sub_f32_e32 v72, v86, v74
	v_sub_f32_e32 v76, v98, v90
	v_fmac_f32_e32 v55, 0x3f737871, v70
	v_add_f32_e32 v70, v97, v89
	v_fmac_f32_e32 v73, 0x3f167918, v68
	v_add_f32_e32 v72, v72, v76
	v_fmac_f32_e32 v55, 0xbf167918, v68
	v_fma_f32 v70, -0.5, v70, v56
	v_fmac_f32_e32 v73, 0x3e9e377a, v72
	v_fmac_f32_e32 v55, 0x3e9e377a, v72
	v_sub_f32_e32 v76, v74, v90
	v_mov_b32_e32 v72, v70
	v_fmac_f32_e32 v72, 0xbf737871, v76
	v_sub_f32_e32 v77, v86, v98
	v_sub_f32_e32 v74, v85, v97
	;; [unrolled: 1-line block ×3, first 2 shown]
	v_fmac_f32_e32 v70, 0x3f737871, v76
	v_fmac_f32_e32 v72, 0xbf167918, v77
	v_add_f32_e32 v74, v74, v78
	v_fmac_f32_e32 v70, 0x3f167918, v77
	v_fmac_f32_e32 v72, 0x3e9e377a, v74
	;; [unrolled: 1-line block ×3, first 2 shown]
	v_add_f32_e32 v74, v85, v75
	v_add_f32_e32 v68, v56, v85
	v_fmac_f32_e32 v56, -0.5, v74
	v_mov_b32_e32 v74, v56
	v_fmac_f32_e32 v74, 0x3f737871, v77
	v_fmac_f32_e32 v56, 0xbf737871, v77
	v_add_f32_e32 v68, v68, v97
	v_fmac_f32_e32 v74, 0xbf167918, v76
	v_fmac_f32_e32 v56, 0x3f167918, v76
	v_add_f32_e32 v76, v88, v103
	v_add_f32_e32 v68, v68, v89
	v_fma_f32 v77, -0.5, v76, v61
	v_add_f32_e32 v68, v68, v75
	v_sub_f32_e32 v78, v97, v85
	v_sub_f32_e32 v75, v89, v75
	;; [unrolled: 1-line block ×3, first 2 shown]
	v_mov_b32_e32 v85, v77
	v_add_f32_e32 v67, v67, v86
	v_add_f32_e32 v75, v78, v75
	v_fmac_f32_e32 v85, 0x3f737871, v76
	v_sub_f32_e32 v78, v102, v91
	v_sub_f32_e32 v86, v99, v88
	;; [unrolled: 1-line block ×3, first 2 shown]
	v_fmac_f32_e32 v77, 0xbf737871, v76
	v_fmac_f32_e32 v85, 0x3f167918, v78
	v_add_f32_e32 v86, v86, v87
	v_fmac_f32_e32 v77, 0xbf167918, v78
	v_fmac_f32_e32 v85, 0x3e9e377a, v86
	;; [unrolled: 1-line block ×3, first 2 shown]
	v_add_f32_e32 v86, v99, v92
	v_fmac_f32_e32 v74, 0x3e9e377a, v75
	v_fmac_f32_e32 v56, 0x3e9e377a, v75
	v_add_f32_e32 v75, v61, v99
	v_fma_f32 v61, -0.5, v86, v61
	v_mov_b32_e32 v87, v61
	v_fmac_f32_e32 v87, 0xbf737871, v78
	v_sub_f32_e32 v86, v88, v99
	v_sub_f32_e32 v89, v103, v92
	v_fmac_f32_e32 v61, 0x3f737871, v78
	v_add_f32_e32 v78, v102, v91
	v_add_f32_e32 v75, v75, v88
	v_fmac_f32_e32 v87, 0x3f167918, v76
	v_add_f32_e32 v86, v86, v89
	v_fmac_f32_e32 v61, 0xbf167918, v76
	v_fma_f32 v78, -0.5, v78, v62
	v_add_f32_e32 v67, v67, v98
	v_add_f32_e32 v75, v75, v103
	v_fmac_f32_e32 v87, 0x3e9e377a, v86
	v_fmac_f32_e32 v61, 0x3e9e377a, v86
	v_sub_f32_e32 v89, v99, v92
	v_mov_b32_e32 v86, v78
	v_add_f32_e32 v67, v67, v90
	v_add_f32_e32 v75, v75, v92
	v_fmac_f32_e32 v86, 0xbf737871, v89
	v_sub_f32_e32 v90, v88, v103
	v_sub_f32_e32 v88, v101, v102
	;; [unrolled: 1-line block ×3, first 2 shown]
	v_fmac_f32_e32 v78, 0x3f737871, v89
	v_fmac_f32_e32 v86, 0xbf167918, v90
	v_add_f32_e32 v88, v88, v92
	v_fmac_f32_e32 v78, 0x3f167918, v90
	v_fmac_f32_e32 v86, 0x3e9e377a, v88
	;; [unrolled: 1-line block ×3, first 2 shown]
	v_add_f32_e32 v88, v101, v104
	v_add_f32_e32 v76, v62, v101
	v_fmac_f32_e32 v62, -0.5, v88
	v_mov_b32_e32 v88, v62
	v_fmac_f32_e32 v88, 0x3f737871, v90
	v_fmac_f32_e32 v62, 0xbf737871, v90
	;; [unrolled: 1-line block ×4, first 2 shown]
	v_mov_b32_e32 v89, 0xff
	v_cndmask_b32_e32 v89, 0, v89, vcc
	v_add_u32_e32 v49, v49, v89
	v_add_lshl_u32 v125, v48, v49, 3
	v_mul_u32_u24_e32 v49, 0xff, v59
	v_add_u32_sdwa v49, v49, v79 dst_sel:DWORD dst_unused:UNUSED_PAD src0_sel:DWORD src1_sel:BYTE_0
	v_add_f32_e32 v76, v76, v102
	v_add_lshl_u32 v126, v48, v49, 3
	v_mul_u32_u24_e32 v49, 0xff, v93
	v_add_f32_e32 v76, v76, v91
	v_sub_f32_e32 v92, v102, v101
	v_sub_f32_e32 v91, v91, v104
	v_add_u32_sdwa v49, v49, v94 dst_sel:DWORD dst_unused:UNUSED_PAD src0_sel:DWORD src1_sel:BYTE_0
	v_add_f32_e32 v76, v76, v104
	v_add_f32_e32 v91, v92, v91
	ds_write2_b64 v125, v[50:51], v[63:64] offset1:51
	ds_write2_b64 v125, v[65:66], v[53:54] offset0:102 offset1:153
	ds_write_b64 v125, v[57:58] offset:1632
	v_add_lshl_u32 v127, v48, v49, 3
	v_lshlrev_b32_e32 v53, 5, v116
	v_fmac_f32_e32 v88, 0x3e9e377a, v91
	v_fmac_f32_e32 v62, 0x3e9e377a, v91
	ds_write2_b64 v126, v[67:68], v[71:72] offset1:51
	ds_write2_b64 v126, v[73:74], v[55:56] offset0:102 offset1:153
	ds_write_b64 v126, v[69:70] offset:1632
	ds_write2_b64 v127, v[75:76], v[85:86] offset1:51
	ds_write2_b64 v127, v[87:88], v[61:62] offset0:102 offset1:153
	ds_write_b64 v127, v[77:78] offset:1632
	s_waitcnt lgkmcnt(0)
	s_barrier
	global_load_dwordx4 v[56:59], v53, s[2:3] offset:1904
	global_load_dwordx4 v[48:51], v53, s[2:3] offset:1920
	v_lshlrev_b32_e32 v61, 5, v52
	global_load_dwordx4 v[64:67], v61, s[2:3] offset:1904
	global_load_dwordx4 v[52:55], v61, s[2:3] offset:1920
	v_lshlrev_b32_e32 v72, 5, v60
	global_load_dwordx4 v[68:71], v72, s[2:3] offset:1904
	global_load_dwordx4 v[60:63], v72, s[2:3] offset:1920
	ds_read2_b64 v[72:75], v118 offset1:85
	ds_read2_b64 v[76:79], v118 offset0:170 offset1:255
	ds_read2_b64 v[85:88], v82 offset0:126 offset1:211
	;; [unrolled: 1-line block ×6, first 2 shown]
	ds_read_b64 v[97:98], v118 offset:9520
	s_waitcnt vmcnt(5) lgkmcnt(6)
	v_mul_f32_e32 v84, v79, v57
	v_fma_f32 v99, v78, v56, -v84
	v_mul_f32_e32 v78, v78, v57
	v_fmac_f32_e32 v78, v79, v56
	s_waitcnt lgkmcnt(5)
	v_mul_f32_e32 v79, v86, v59
	s_waitcnt vmcnt(4) lgkmcnt(4)
	v_mul_f32_e32 v84, v92, v49
	v_fma_f32 v79, v85, v58, -v79
	v_mul_f32_e32 v105, v85, v59
	v_fma_f32 v85, v91, v48, -v84
	v_mul_f32_e32 v91, v91, v49
	s_waitcnt lgkmcnt(3)
	v_mul_f32_e32 v84, v94, v51
	v_fmac_f32_e32 v91, v92, v48
	v_fma_f32 v92, v93, v50, -v84
	v_mul_f32_e32 v93, v93, v51
	s_waitcnt vmcnt(3) lgkmcnt(2)
	v_mul_f32_e32 v84, v102, v65
	v_fmac_f32_e32 v93, v94, v50
	v_fma_f32 v94, v101, v64, -v84
	v_mul_f32_e32 v84, v88, v67
	v_fma_f32 v107, v87, v66, -v84
	s_waitcnt vmcnt(2) lgkmcnt(1)
	v_mul_f32_e32 v84, v81, v53
	v_fma_f32 v109, v80, v52, -v84
	v_mul_f32_e32 v110, v80, v53
	v_mul_f32_e32 v80, v96, v55
	v_fma_f32 v111, v95, v54, -v80
	s_waitcnt vmcnt(1)
	v_mul_f32_e32 v80, v104, v69
	v_fma_f32 v112, v103, v68, -v80
	v_mul_f32_e32 v103, v103, v69
	v_mul_f32_e32 v80, v90, v71
	v_fmac_f32_e32 v103, v104, v68
	v_fma_f32 v104, v89, v70, -v80
	s_waitcnt vmcnt(0)
	v_mul_f32_e32 v80, v83, v61
	v_fma_f32 v114, v82, v60, -v80
	s_waitcnt lgkmcnt(0)
	v_mul_f32_e32 v80, v98, v63
	v_fma_f32 v128, v97, v62, -v80
	v_add_f32_e32 v80, v72, v99
	v_add_f32_e32 v80, v80, v79
	;; [unrolled: 1-line block ×3, first 2 shown]
	v_mul_f32_e32 v106, v101, v65
	v_add_f32_e32 v101, v80, v92
	v_add_f32_e32 v80, v79, v85
	v_fmac_f32_e32 v105, v86, v58
	v_fma_f32 v86, -0.5, v80, v72
	v_fmac_f32_e32 v110, v81, v52
	v_mul_f32_e32 v119, v82, v61
	v_sub_f32_e32 v81, v78, v93
	v_mov_b32_e32 v80, v86
	v_fmac_f32_e32 v119, v83, v60
	v_fmac_f32_e32 v80, 0x3f737871, v81
	v_sub_f32_e32 v83, v105, v91
	v_sub_f32_e32 v82, v99, v79
	;; [unrolled: 1-line block ×3, first 2 shown]
	v_fmac_f32_e32 v86, 0xbf737871, v81
	v_fmac_f32_e32 v80, 0x3f167918, v83
	v_add_f32_e32 v82, v82, v84
	v_fmac_f32_e32 v86, 0xbf167918, v83
	v_fmac_f32_e32 v80, 0x3e9e377a, v82
	;; [unrolled: 1-line block ×3, first 2 shown]
	v_add_f32_e32 v82, v99, v92
	v_fma_f32 v84, -0.5, v82, v72
	v_mov_b32_e32 v82, v84
	v_mul_f32_e32 v108, v87, v67
	v_fmac_f32_e32 v82, 0xbf737871, v83
	v_sub_f32_e32 v72, v79, v99
	v_sub_f32_e32 v87, v85, v92
	v_fmac_f32_e32 v84, 0x3f737871, v83
	v_fmac_f32_e32 v82, 0x3f167918, v81
	v_add_f32_e32 v72, v72, v87
	v_fmac_f32_e32 v84, 0xbf167918, v81
	v_fmac_f32_e32 v82, 0x3e9e377a, v72
	;; [unrolled: 1-line block ×3, first 2 shown]
	v_add_f32_e32 v72, v73, v78
	v_add_f32_e32 v72, v72, v105
	;; [unrolled: 1-line block ×3, first 2 shown]
	v_fmac_f32_e32 v106, v102, v64
	v_add_f32_e32 v102, v72, v93
	v_add_f32_e32 v72, v105, v91
	v_fma_f32 v87, -0.5, v72, v73
	v_sub_f32_e32 v72, v99, v92
	v_mov_b32_e32 v81, v87
	v_fmac_f32_e32 v81, 0xbf737871, v72
	v_sub_f32_e32 v79, v79, v85
	v_sub_f32_e32 v83, v78, v105
	;; [unrolled: 1-line block ×3, first 2 shown]
	v_fmac_f32_e32 v87, 0x3f737871, v72
	v_fmac_f32_e32 v81, 0xbf167918, v79
	v_add_f32_e32 v83, v83, v85
	v_fmac_f32_e32 v87, 0x3f167918, v79
	v_fmac_f32_e32 v81, 0x3e9e377a, v83
	;; [unrolled: 1-line block ×3, first 2 shown]
	v_add_f32_e32 v83, v78, v93
	v_fma_f32 v85, -0.5, v83, v73
	v_mov_b32_e32 v83, v85
	v_fmac_f32_e32 v83, 0x3f737871, v79
	v_fmac_f32_e32 v85, 0xbf737871, v79
	;; [unrolled: 1-line block ×4, first 2 shown]
	v_add_f32_e32 v72, v74, v94
	v_add_f32_e32 v72, v72, v107
	;; [unrolled: 1-line block ×3, first 2 shown]
	v_fmac_f32_e32 v108, v88, v66
	v_mul_f32_e32 v95, v95, v55
	v_sub_f32_e32 v73, v105, v78
	v_sub_f32_e32 v78, v91, v93
	v_add_f32_e32 v88, v72, v111
	v_add_f32_e32 v72, v107, v109
	v_fmac_f32_e32 v95, v96, v54
	v_mul_f32_e32 v113, v89, v71
	v_add_f32_e32 v73, v73, v78
	v_fma_f32 v92, -0.5, v72, v74
	v_fmac_f32_e32 v113, v90, v70
	v_fmac_f32_e32 v83, 0x3e9e377a, v73
	;; [unrolled: 1-line block ×3, first 2 shown]
	v_sub_f32_e32 v73, v106, v95
	v_mov_b32_e32 v90, v92
	v_fmac_f32_e32 v90, 0x3f737871, v73
	v_sub_f32_e32 v78, v108, v110
	v_sub_f32_e32 v72, v94, v107
	;; [unrolled: 1-line block ×3, first 2 shown]
	v_fmac_f32_e32 v92, 0xbf737871, v73
	v_fmac_f32_e32 v90, 0x3f167918, v78
	v_add_f32_e32 v72, v72, v79
	v_fmac_f32_e32 v92, 0xbf167918, v78
	v_fmac_f32_e32 v90, 0x3e9e377a, v72
	;; [unrolled: 1-line block ×3, first 2 shown]
	v_add_f32_e32 v72, v94, v111
	v_fma_f32 v74, -0.5, v72, v74
	v_mov_b32_e32 v72, v74
	v_fmac_f32_e32 v72, 0xbf737871, v78
	v_fmac_f32_e32 v74, 0x3f737871, v78
	;; [unrolled: 1-line block ×4, first 2 shown]
	v_add_f32_e32 v73, v75, v106
	v_add_f32_e32 v73, v73, v108
	v_sub_f32_e32 v79, v107, v94
	v_sub_f32_e32 v89, v109, v111
	v_add_f32_e32 v73, v73, v110
	v_add_f32_e32 v79, v79, v89
	;; [unrolled: 1-line block ×4, first 2 shown]
	v_fma_f32 v93, -0.5, v73, v75
	v_sub_f32_e32 v78, v94, v111
	v_mov_b32_e32 v91, v93
	v_fmac_f32_e32 v72, 0x3e9e377a, v79
	v_fmac_f32_e32 v74, 0x3e9e377a, v79
	;; [unrolled: 1-line block ×3, first 2 shown]
	v_sub_f32_e32 v79, v107, v109
	v_sub_f32_e32 v73, v106, v108
	;; [unrolled: 1-line block ×3, first 2 shown]
	v_fmac_f32_e32 v93, 0x3f737871, v78
	v_fmac_f32_e32 v91, 0xbf167918, v79
	v_add_f32_e32 v73, v73, v94
	v_fmac_f32_e32 v93, 0x3f167918, v79
	v_fmac_f32_e32 v91, 0x3e9e377a, v73
	;; [unrolled: 1-line block ×3, first 2 shown]
	v_add_f32_e32 v73, v106, v95
	v_fmac_f32_e32 v75, -0.5, v73
	v_mov_b32_e32 v73, v75
	v_fmac_f32_e32 v73, 0x3f737871, v79
	v_fmac_f32_e32 v75, 0xbf737871, v79
	;; [unrolled: 1-line block ×4, first 2 shown]
	v_add_f32_e32 v78, v76, v112
	v_sub_f32_e32 v94, v108, v106
	v_sub_f32_e32 v95, v110, v95
	v_add_f32_e32 v78, v78, v104
	v_add_f32_e32 v94, v94, v95
	v_add_f32_e32 v78, v78, v114
	v_mul_f32_e32 v129, v97, v63
	v_fmac_f32_e32 v73, 0x3e9e377a, v94
	v_fmac_f32_e32 v75, 0x3e9e377a, v94
	v_add_f32_e32 v94, v78, v128
	v_add_f32_e32 v78, v104, v114
	v_fmac_f32_e32 v129, v98, v62
	v_fma_f32 v78, -0.5, v78, v76
	v_sub_f32_e32 v79, v103, v129
	v_mov_b32_e32 v96, v78
	v_fmac_f32_e32 v96, 0x3f737871, v79
	v_sub_f32_e32 v95, v113, v119
	v_sub_f32_e32 v97, v112, v104
	v_sub_f32_e32 v98, v128, v114
	v_fmac_f32_e32 v78, 0xbf737871, v79
	v_fmac_f32_e32 v96, 0x3f167918, v95
	v_add_f32_e32 v97, v97, v98
	v_fmac_f32_e32 v78, 0xbf167918, v95
	v_fmac_f32_e32 v96, 0x3e9e377a, v97
	;; [unrolled: 1-line block ×3, first 2 shown]
	v_add_f32_e32 v97, v112, v128
	v_fma_f32 v76, -0.5, v97, v76
	v_mov_b32_e32 v98, v76
	v_fmac_f32_e32 v98, 0xbf737871, v95
	v_fmac_f32_e32 v76, 0x3f737871, v95
	;; [unrolled: 1-line block ×4, first 2 shown]
	v_add_f32_e32 v79, v77, v103
	v_add_f32_e32 v79, v79, v113
	;; [unrolled: 1-line block ×3, first 2 shown]
	v_sub_f32_e32 v97, v104, v112
	v_sub_f32_e32 v99, v114, v128
	v_add_f32_e32 v95, v79, v129
	v_add_f32_e32 v79, v113, v119
	;; [unrolled: 1-line block ×3, first 2 shown]
	v_fma_f32 v79, -0.5, v79, v77
	v_fmac_f32_e32 v98, 0x3e9e377a, v97
	v_fmac_f32_e32 v76, 0x3e9e377a, v97
	v_sub_f32_e32 v105, v112, v128
	v_mov_b32_e32 v97, v79
	v_fmac_f32_e32 v97, 0xbf737871, v105
	v_sub_f32_e32 v104, v104, v114
	v_sub_f32_e32 v99, v103, v113
	;; [unrolled: 1-line block ×3, first 2 shown]
	v_fmac_f32_e32 v79, 0x3f737871, v105
	v_fmac_f32_e32 v97, 0xbf167918, v104
	v_add_f32_e32 v99, v99, v106
	v_fmac_f32_e32 v79, 0x3f167918, v104
	v_fmac_f32_e32 v97, 0x3e9e377a, v99
	;; [unrolled: 1-line block ×3, first 2 shown]
	v_add_f32_e32 v99, v103, v129
	v_fmac_f32_e32 v77, -0.5, v99
	v_mov_b32_e32 v99, v77
	v_fmac_f32_e32 v99, 0x3f737871, v104
	v_sub_f32_e32 v103, v113, v103
	v_sub_f32_e32 v106, v119, v129
	v_fmac_f32_e32 v77, 0xbf737871, v104
	v_fmac_f32_e32 v99, 0xbf167918, v105
	v_add_f32_e32 v103, v103, v106
	v_fmac_f32_e32 v77, 0x3f167918, v105
	v_lshl_add_u32 v119, v116, 3, v117
	v_fmac_f32_e32 v99, 0x3e9e377a, v103
	v_fmac_f32_e32 v77, 0x3e9e377a, v103
	v_add_u32_e32 v104, 0x400, v119
	v_add_u32_e32 v103, 0x1400, v119
	ds_write_b64 v205, v[101:102]
	ds_write2_b64 v104, v[80:81], v[90:91] offset0:127 offset1:212
	ds_write2_b64 v103, v[84:85], v[74:75] offset0:125 offset1:210
	ds_write2_b64 v119, v[88:89], v[94:95] offset0:85 offset1:170
	v_add_u32_e32 v107, 0x800, v119
	v_add_u32_e32 v106, 0x1000, v119
	;; [unrolled: 1-line block ×4, first 2 shown]
	ds_write2_b64 v107, v[96:97], v[82:83] offset0:169 offset1:254
	ds_write2_b64 v106, v[72:73], v[98:99] offset0:83 offset1:168
	;; [unrolled: 1-line block ×4, first 2 shown]
	s_waitcnt lgkmcnt(0)
	s_barrier
	s_and_saveexec_b64 s[2:3], s[0:1]
	s_cbranch_execz .LBB0_9
; %bb.8:
	v_mov_b32_e32 v108, s9
	v_add_co_u32_e32 v114, vcc, s8, v115
	v_addc_co_u32_e32 v131, vcc, 0, v108, vcc
	v_add_co_u32_e32 v108, vcc, 0x27d8, v114
	v_addc_co_u32_e32 v109, vcc, 0, v131, vcc
	;; [unrolled: 2-line block ×3, first 2 shown]
	s_movk_i32 s12, 0x3000
	global_load_dwordx2 v[110:111], v[110:111], off offset:2008
	s_nop 0
	global_load_dwordx2 v[112:113], v[108:109], off offset:600
	global_load_dwordx2 v[149:150], v[108:109], off offset:1200
	;; [unrolled: 1-line block ×5, first 2 shown]
	v_add_co_u32_e32 v129, vcc, s12, v114
	v_addc_co_u32_e32 v130, vcc, 0, v131, vcc
	global_load_dwordx2 v[157:158], v[129:130], off offset:2112
	global_load_dwordx2 v[159:160], v[108:109], off offset:3600
	;; [unrolled: 1-line block ×5, first 2 shown]
	s_movk_i32 s12, 0x4000
	v_add_co_u32_e32 v108, vcc, s12, v114
	v_addc_co_u32_e32 v109, vcc, 0, v131, vcc
	global_load_dwordx2 v[167:168], v[108:109], off offset:416
	global_load_dwordx2 v[169:170], v[108:109], off offset:1016
	;; [unrolled: 1-line block ×4, first 2 shown]
	ds_read_b64 v[129:130], v205
	global_load_dwordx2 v[175:176], v[108:109], off offset:2816
	global_load_dwordx2 v[177:178], v[108:109], off offset:3416
	s_waitcnt vmcnt(16) lgkmcnt(0)
	v_mul_f32_e32 v108, v130, v111
	v_mul_f32_e32 v109, v129, v111
	v_fma_f32 v108, v129, v110, -v108
	v_fmac_f32_e32 v109, v130, v110
	ds_write_b64 v205, v[108:109]
	ds_read2_b64 v[108:111], v119 offset0:75 offset1:150
	ds_read2_b64 v[129:132], v104 offset0:97 offset1:172
	;; [unrolled: 1-line block ×6, first 2 shown]
	s_waitcnt vmcnt(15) lgkmcnt(5)
	v_mul_f32_e32 v179, v109, v113
	v_mul_f32_e32 v114, v108, v113
	s_waitcnt vmcnt(14)
	v_mul_f32_e32 v181, v111, v150
	v_mul_f32_e32 v180, v110, v150
	s_waitcnt vmcnt(13) lgkmcnt(4)
	v_mul_f32_e32 v182, v130, v152
	v_mul_f32_e32 v150, v129, v152
	s_waitcnt vmcnt(12)
	v_mul_f32_e32 v183, v132, v154
	v_mul_f32_e32 v152, v131, v154
	;; [unrolled: 6-line block ×3, first 2 shown]
	s_waitcnt lgkmcnt(2)
	v_mul_f32_e32 v186, v138, v158
	v_mul_f32_e32 v160, v137, v158
	s_waitcnt vmcnt(8)
	v_mul_f32_e32 v187, v140, v162
	v_mul_f32_e32 v158, v139, v162
	s_waitcnt vmcnt(7) lgkmcnt(1)
	v_mul_f32_e32 v188, v142, v164
	v_mul_f32_e32 v162, v141, v164
	s_waitcnt vmcnt(6)
	v_mul_f32_e32 v164, v144, v166
	v_fma_f32 v113, v108, v112, -v179
	v_fmac_f32_e32 v114, v109, v112
	v_fma_f32 v179, v110, v149, -v181
	v_fmac_f32_e32 v180, v111, v149
	v_mul_f32_e32 v108, v143, v166
	v_fma_f32 v149, v129, v151, -v182
	v_fmac_f32_e32 v150, v130, v151
	v_fma_f32 v151, v131, v153, -v183
	v_fmac_f32_e32 v152, v132, v153
	;; [unrolled: 2-line block ×7, first 2 shown]
	ds_write2_b64 v119, v[113:114], v[179:180] offset0:75 offset1:150
	ds_write2_b64 v104, v[149:150], v[151:152] offset0:97 offset1:172
	;; [unrolled: 1-line block ×4, first 2 shown]
	v_fma_f32 v107, v143, v165, -v164
	v_fmac_f32_e32 v108, v144, v165
	v_add_u32_e32 v114, 0x1c00, v119
	ds_write2_b64 v106, v[161:162], v[107:108] offset0:163 offset1:238
	ds_read2_b64 v[106:109], v114 offset0:79 offset1:154
	s_waitcnt vmcnt(5) lgkmcnt(6)
	v_mul_f32_e32 v104, v146, v168
	v_fma_f32 v110, v145, v167, -v104
	v_mul_f32_e32 v111, v145, v168
	s_waitcnt vmcnt(4)
	v_mul_f32_e32 v104, v148, v170
	v_mul_f32_e32 v113, v147, v170
	v_fmac_f32_e32 v111, v146, v167
	v_fma_f32 v112, v147, v169, -v104
	v_fmac_f32_e32 v113, v148, v169
	ds_write2_b64 v105, v[110:111], v[112:113] offset0:57 offset1:132
	s_waitcnt vmcnt(3) lgkmcnt(1)
	v_mul_f32_e32 v104, v107, v172
	v_mul_f32_e32 v111, v106, v172
	v_fma_f32 v110, v106, v171, -v104
	v_fmac_f32_e32 v111, v107, v171
	ds_read2_b64 v[104:107], v103 offset0:101 offset1:176
	s_waitcnt vmcnt(2)
	v_mul_f32_e32 v112, v109, v174
	v_mul_f32_e32 v113, v108, v174
	v_fma_f32 v112, v108, v173, -v112
	v_fmac_f32_e32 v113, v109, v173
	s_waitcnt vmcnt(1) lgkmcnt(0)
	v_mul_f32_e32 v108, v105, v176
	v_mul_f32_e32 v109, v104, v176
	v_fma_f32 v108, v104, v175, -v108
	v_fmac_f32_e32 v109, v105, v175
	s_waitcnt vmcnt(0)
	v_mul_f32_e32 v104, v107, v178
	v_mul_f32_e32 v105, v106, v178
	v_fma_f32 v104, v106, v177, -v104
	v_fmac_f32_e32 v105, v107, v177
	ds_write2_b64 v114, v[110:111], v[112:113] offset0:79 offset1:154
	ds_write2_b64 v103, v[108:109], v[104:105] offset0:101 offset1:176
.LBB0_9:
	s_or_b64 exec, exec, s[2:3]
	s_waitcnt lgkmcnt(0)
	s_barrier
	s_and_saveexec_b64 s[2:3], s[0:1]
	s_cbranch_execz .LBB0_11
; %bb.10:
	v_add_u32_e32 v0, 0x400, v205
	ds_read_b64 v[101:102], v205
	ds_read2_b64 v[80:83], v205 offset0:75 offset1:150
	ds_read2_b64 v[84:87], v0 offset0:97 offset1:172
	v_add_u32_e32 v0, 0x800, v205
	ds_read2_b64 v[88:91], v0 offset0:119 offset1:194
	v_add_u32_e32 v0, 0x1000, v205
	ds_read2_b64 v[72:75], v0 offset0:13 offset1:88
	ds_read2_b64 v[92:95], v0 offset0:163 offset1:238
	v_add_u32_e32 v0, 0x1800, v205
	ds_read2_b64 v[96:99], v0 offset0:57 offset1:132
	v_add_u32_e32 v0, 0x2000, v205
	v_add_u32_e32 v76, 0x1c00, v205
	ds_read2_b64 v[0:3], v0 offset0:101 offset1:176
	ds_read2_b64 v[76:79], v76 offset0:79 offset1:154
.LBB0_11:
	s_or_b64 exec, exec, s[2:3]
	v_add_u32_e32 v106, 0x2a8, v119
	v_add_u32_e32 v105, 0x550, v119
	s_waitcnt lgkmcnt(0)
	s_barrier
	s_and_saveexec_b64 s[2:3], s[0:1]
	s_cbranch_execz .LBB0_13
; %bb.12:
	v_add_f32_e32 v173, v3, v81
	v_mul_f32_e32 v147, 0xbf7ba420, v173
	v_add_f32_e32 v174, v1, v83
	v_sub_f32_e32 v131, v80, v2
	v_mov_b32_e32 v103, v147
	v_mul_f32_e32 v148, 0x3f6eb680, v174
	v_fmac_f32_e32 v103, 0x3e3c28d5, v131
	v_sub_f32_e32 v132, v82, v0
	v_mov_b32_e32 v104, v148
	v_add_f32_e32 v175, v79, v85
	v_add_f32_e32 v103, v102, v103
	v_fmac_f32_e32 v104, 0xbeb8f4ab, v132
	v_mul_f32_e32 v149, 0xbf59a7d5, v175
	v_add_f32_e32 v103, v104, v103
	v_sub_f32_e32 v133, v84, v78
	v_mov_b32_e32 v104, v149
	v_add_f32_e32 v176, v77, v87
	v_fmac_f32_e32 v104, 0x3f06c442, v133
	v_mul_f32_e32 v150, 0x3f3d2fb0, v176
	v_add_f32_e32 v103, v104, v103
	v_sub_f32_e32 v134, v86, v76
	v_mov_b32_e32 v104, v150
	;; [unrolled: 6-line block ×6, first 2 shown]
	v_fmac_f32_e32 v104, 0xbf7ee86f, v138
	v_sub_f32_e32 v181, v81, v3
	v_add_f32_e32 v104, v104, v103
	v_add_f32_e32 v139, v2, v80
	v_mul_f32_e32 v103, 0xbe3c28d5, v181
	v_sub_f32_e32 v182, v83, v1
	buffer_store_dword v103, off, s[20:23], 0 offset:48 ; 4-byte Folded Spill
	v_fmac_f32_e32 v103, 0xbf7ba420, v139
	v_add_f32_e32 v140, v0, v82
	v_mul_f32_e32 v105, 0x3eb8f4ab, v182
	v_add_f32_e32 v103, v101, v103
	buffer_store_dword v105, off, s[20:23], 0 offset:52 ; 4-byte Folded Spill
	v_fmac_f32_e32 v105, 0x3f6eb680, v140
	v_sub_f32_e32 v183, v85, v79
	v_add_f32_e32 v103, v105, v103
	v_add_f32_e32 v141, v78, v84
	v_mul_f32_e32 v105, 0xbf06c442, v183
	buffer_store_dword v105, off, s[20:23], 0 offset:56 ; 4-byte Folded Spill
	v_fmac_f32_e32 v105, 0xbf59a7d5, v141
	v_sub_f32_e32 v184, v87, v77
	v_add_f32_e32 v103, v105, v103
	v_add_f32_e32 v142, v76, v86
	v_mul_f32_e32 v105, 0x3f2c7751, v184
	;; [unrolled: 6-line block ×4, first 2 shown]
	buffer_store_dword v105, off, s[20:23], 0 offset:68 ; 4-byte Folded Spill
	v_fmac_f32_e32 v105, 0x3ee437d1, v144
	v_sub_f32_e32 v187, v73, v95
	v_add_f32_e32 v81, v81, v102
	v_add_f32_e32 v103, v105, v103
	;; [unrolled: 1-line block ×3, first 2 shown]
	v_mul_f32_e32 v105, 0xbf763a35, v187
	v_add_f32_e32 v81, v83, v81
	buffer_store_dword v105, off, s[20:23], 0 offset:72 ; 4-byte Folded Spill
	v_fmac_f32_e32 v105, 0xbe8c1d8e, v145
	v_sub_f32_e32 v188, v75, v93
	v_add_f32_e32 v81, v85, v81
	v_add_f32_e32 v103, v105, v103
	;; [unrolled: 1-line block ×3, first 2 shown]
	v_mul_f32_e32 v105, 0x3f7ee86f, v188
	v_add_f32_e32 v81, v87, v81
	buffer_store_dword v105, off, s[20:23], 0 offset:76 ; 4-byte Folded Spill
	v_fmac_f32_e32 v105, 0x3dbcf732, v146
	v_mul_f32_e32 v163, 0xbf59a7d5, v173
	v_add_f32_e32 v81, v89, v81
	v_add_f32_e32 v103, v105, v103
	v_mov_b32_e32 v105, v163
	v_mul_f32_e32 v164, 0x3ee437d1, v174
	v_add_f32_e32 v81, v91, v81
	v_fmac_f32_e32 v105, 0x3f06c442, v131
	v_mov_b32_e32 v106, v164
	v_add_f32_e32 v73, v73, v81
	v_add_f32_e32 v105, v102, v105
	v_fmac_f32_e32 v106, 0xbf65296c, v132
	v_mul_f32_e32 v165, 0x3dbcf732, v175
	v_add_f32_e32 v73, v75, v73
	v_add_f32_e32 v105, v106, v105
	v_mov_b32_e32 v106, v165
	v_add_f32_e32 v73, v93, v73
	v_fmac_f32_e32 v106, 0x3f7ee86f, v133
	v_mul_f32_e32 v166, 0xbf1a4643, v176
	v_add_f32_e32 v73, v95, v73
	v_add_f32_e32 v105, v106, v105
	v_mov_b32_e32 v106, v166
	;; [unrolled: 6-line block ×4, first 2 shown]
	v_add_f32_e32 v1, v1, v73
	v_fmac_f32_e32 v106, 0x3e3c28d5, v136
	v_mul_f32_e32 v169, 0x3f3d2fb0, v179
	v_add_f32_e32 v1, v3, v1
	v_add_f32_e32 v3, v80, v101
	;; [unrolled: 1-line block ×3, first 2 shown]
	v_mov_b32_e32 v106, v169
	v_add_f32_e32 v3, v82, v3
	v_fmac_f32_e32 v106, 0xbf2c7751, v137
	v_mul_f32_e32 v170, 0xbe8c1d8e, v180
	v_add_f32_e32 v3, v84, v3
	v_add_f32_e32 v105, v106, v105
	v_mov_b32_e32 v106, v170
	v_add_f32_e32 v3, v86, v3
	buffer_store_dword v103, off, s[20:23], 0 offset:32 ; 4-byte Folded Spill
	s_nop 0
	buffer_store_dword v104, off, s[20:23], 0 offset:36 ; 4-byte Folded Spill
	v_fmac_f32_e32 v106, 0x3f763a35, v138
	v_mul_f32_e32 v162, 0xbf06c442, v181
	v_add_f32_e32 v3, v88, v3
	v_add_f32_e32 v104, v106, v105
	v_mov_b32_e32 v105, v162
	v_mul_f32_e32 v161, 0x3f65296c, v182
	v_add_f32_e32 v3, v90, v3
	v_fmac_f32_e32 v105, 0xbf59a7d5, v139
	v_mov_b32_e32 v107, v161
	v_add_f32_e32 v3, v72, v3
	v_add_f32_e32 v105, v101, v105
	v_fmac_f32_e32 v107, 0x3ee437d1, v140
	v_mul_f32_e32 v160, 0xbf7ee86f, v183
	v_add_f32_e32 v3, v74, v3
	v_add_f32_e32 v105, v107, v105
	v_mov_b32_e32 v107, v160
	v_add_f32_e32 v3, v92, v3
	v_fmac_f32_e32 v107, 0x3dbcf732, v141
	v_mul_f32_e32 v159, 0x3f4c4adb, v184
	v_add_f32_e32 v3, v94, v3
	v_add_f32_e32 v105, v107, v105
	v_mov_b32_e32 v107, v159
	;; [unrolled: 6-line block ×4, first 2 shown]
	v_add_f32_e32 v0, v0, v3
	v_fmac_f32_e32 v147, 0xbe3c28d5, v131
	v_fmac_f32_e32 v107, 0xbf7ba420, v144
	v_mul_f32_e32 v156, 0x3f2c7751, v187
	v_add_f32_e32 v0, v2, v0
	v_add_f32_e32 v2, v102, v147
	v_fmac_f32_e32 v148, 0x3eb8f4ab, v132
	v_add_f32_e32 v105, v107, v105
	v_mov_b32_e32 v107, v156
	v_add_f32_e32 v2, v148, v2
	v_fmac_f32_e32 v149, 0xbf06c442, v133
	v_fmac_f32_e32 v107, 0x3f3d2fb0, v145
	v_mul_f32_e32 v155, 0xbf763a35, v188
	v_add_f32_e32 v2, v149, v2
	v_fmac_f32_e32 v150, 0x3f2c7751, v134
	v_add_f32_e32 v105, v107, v105
	v_mov_b32_e32 v107, v155
	v_add_f32_e32 v2, v150, v2
	v_fmac_f32_e32 v151, 0xbf4c4adb, v135
	v_fmac_f32_e32 v107, 0xbe8c1d8e, v146
	v_add_f32_e32 v2, v151, v2
	v_fmac_f32_e32 v152, 0x3f65296c, v136
	v_add_f32_e32 v103, v107, v105
	v_add_f32_e32 v2, v152, v2
	v_fmac_f32_e32 v153, 0xbf763a35, v137
	buffer_store_dword v103, off, s[20:23], 0 offset:40 ; 4-byte Folded Spill
	s_nop 0
	buffer_store_dword v104, off, s[20:23], 0 offset:44 ; 4-byte Folded Spill
	v_add_f32_e32 v2, v153, v2
	v_fmac_f32_e32 v154, 0x3f7ee86f, v138
	v_add_f32_e32 v3, v154, v2
	buffer_load_dword v2, off, s[20:23], 0 offset:48 ; 4-byte Folded Reload
	buffer_load_dword v72, off, s[20:23], 0 offset:52 ; 4-byte Folded Reload
	s_mov_b32 s12, 0xbf7ba420
	buffer_store_dword v117, off, s[20:23], 0 offset:80 ; 4-byte Folded Spill
	buffer_load_dword v87, off, s[20:23], 0 offset:80 ; 4-byte Folded Reload
	s_mov_b32 s14, 0x3f6eb680
	s_mov_b32 s13, 0xbf59a7d5
	;; [unrolled: 1-line block ×5, first 2 shown]
	v_mul_f32_e32 v197, 0xbf1a4643, v173
	v_mov_b32_e32 v107, v197
	v_mul_f32_e32 v198, 0xbe8c1d8e, v174
	v_fmac_f32_e32 v107, 0x3f4c4adb, v131
	v_mov_b32_e32 v108, v198
	v_add_f32_e32 v107, v102, v107
	v_fmac_f32_e32 v108, 0xbf763a35, v132
	v_mul_f32_e32 v199, 0x3f6eb680, v175
	v_add_f32_e32 v107, v108, v107
	v_mov_b32_e32 v108, v199
	v_fmac_f32_e32 v108, 0x3eb8f4ab, v133
	v_mul_f32_e32 v200, 0xbf59a7d5, v176
	v_add_f32_e32 v107, v108, v107
	v_mov_b32_e32 v108, v200
	v_fmac_f32_e32 v108, 0x3f06c442, v134
	v_mul_f32_e32 v201, 0x3dbcf732, v177
	v_add_f32_e32 v107, v108, v107
	v_mov_b32_e32 v108, v201
	v_fmac_f32_e32 v108, 0xbf7ee86f, v135
	v_mul_f32_e32 v202, 0x3f3d2fb0, v178
	v_add_f32_e32 v107, v108, v107
	v_mov_b32_e32 v108, v202
	v_fmac_f32_e32 v108, 0x3f2c7751, v136
	v_mul_f32_e32 v203, 0xbf7ba420, v179
	v_add_f32_e32 v107, v108, v107
	v_mov_b32_e32 v108, v203
	v_fmac_f32_e32 v108, 0x3e3c28d5, v137
	v_mul_f32_e32 v204, 0x3ee437d1, v180
	v_add_f32_e32 v107, v108, v107
	v_mov_b32_e32 v108, v204
	v_fmac_f32_e32 v108, 0xbf65296c, v138
	v_mul_f32_e32 v106, 0xbf4c4adb, v181
	v_add_f32_e32 v108, v108, v107
	v_mov_b32_e32 v107, v106
	v_mul_f32_e32 v206, 0x3f763a35, v182
	v_fmac_f32_e32 v107, 0xbf1a4643, v139
	v_mov_b32_e32 v109, v206
	v_add_f32_e32 v107, v101, v107
	v_fmac_f32_e32 v109, 0xbe8c1d8e, v140
	v_mul_f32_e32 v207, 0xbeb8f4ab, v183
	v_add_f32_e32 v107, v109, v107
	v_mov_b32_e32 v109, v207
	v_fmac_f32_e32 v109, 0x3f6eb680, v141
	v_mul_f32_e32 v208, 0xbf06c442, v184
	v_add_f32_e32 v107, v109, v107
	v_mov_b32_e32 v109, v208
	;; [unrolled: 4-line block ×7, first 2 shown]
	v_mul_f32_e32 v214, 0xbf59a7d5, v174
	v_fmac_f32_e32 v109, 0x3f763a35, v131
	v_mov_b32_e32 v110, v214
	v_add_f32_e32 v109, v102, v109
	s_waitcnt vmcnt(3)
	v_fma_f32 v2, v139, s12, -v2
	v_add_f32_e32 v2, v101, v2
	s_waitcnt vmcnt(2)
	v_fma_f32 v72, v140, s14, -v72
	v_add_f32_e32 v2, v72, v2
	buffer_load_dword v72, off, s[20:23], 0 offset:56 ; 4-byte Folded Reload
	v_fmac_f32_e32 v110, 0xbf06c442, v132
	v_mul_f32_e32 v215, 0x3f3d2fb0, v175
	v_add_f32_e32 v109, v110, v109
	v_mov_b32_e32 v110, v215
	v_fmac_f32_e32 v110, 0xbf2c7751, v133
	v_mul_f32_e32 v216, 0x3ee437d1, v176
	v_add_f32_e32 v109, v110, v109
	v_mov_b32_e32 v110, v216
	;; [unrolled: 4-line block ×7, first 2 shown]
	v_mul_f32_e32 v222, 0x3f06c442, v182
	v_fmac_f32_e32 v109, 0xbe8c1d8e, v139
	v_mov_b32_e32 v111, v222
	v_add_f32_e32 v109, v101, v109
	v_fmac_f32_e32 v111, 0xbf59a7d5, v140
	v_mul_f32_e32 v223, 0x3f2c7751, v183
	v_add_f32_e32 v109, v111, v109
	v_mov_b32_e32 v111, v223
	v_fmac_f32_e32 v111, 0x3f3d2fb0, v141
	v_mul_f32_e32 v224, 0xbf65296c, v184
	v_add_f32_e32 v109, v111, v109
	v_mov_b32_e32 v111, v224
	;; [unrolled: 4-line block ×7, first 2 shown]
	v_mul_f32_e32 v230, 0xbf7ba420, v174
	v_fmac_f32_e32 v111, 0x3f7ee86f, v131
	v_mov_b32_e32 v112, v230
	v_add_f32_e32 v111, v102, v111
	v_fmac_f32_e32 v112, 0x3e3c28d5, v132
	v_mul_f32_e32 v231, 0xbe8c1d8e, v175
	v_add_f32_e32 v111, v112, v111
	v_mov_b32_e32 v112, v231
	v_fmac_f32_e32 v112, 0xbf763a35, v133
	v_mul_f32_e32 v232, 0x3f6eb680, v176
	v_add_f32_e32 v111, v112, v111
	v_mov_b32_e32 v112, v232
	v_fmac_f32_e32 v112, 0xbeb8f4ab, v134
	v_mul_f32_e32 v233, 0x3ee437d1, v177
	v_add_f32_e32 v111, v112, v111
	v_mov_b32_e32 v112, v233
	v_fmac_f32_e32 v112, 0x3f65296c, v135
	v_mul_f32_e32 v234, 0xbf59a7d5, v178
	v_add_f32_e32 v111, v112, v111
	s_waitcnt vmcnt(0)
	v_fma_f32 v72, v141, s13, -v72
	v_add_f32_e32 v2, v72, v2
	buffer_load_dword v72, off, s[20:23], 0 offset:60 ; 4-byte Folded Reload
	v_mov_b32_e32 v112, v234
	v_fmac_f32_e32 v112, 0x3f06c442, v136
	v_mul_f32_e32 v235, 0xbf1a4643, v179
	v_add_f32_e32 v111, v112, v111
	v_mov_b32_e32 v112, v235
	v_fmac_f32_e32 v112, 0xbf4c4adb, v137
	v_mul_f32_e32 v236, 0x3f3d2fb0, v180
	v_add_f32_e32 v111, v112, v111
	;; [unrolled: 4-line block ×3, first 2 shown]
	v_mov_b32_e32 v111, v237
	v_mul_f32_e32 v238, 0xbe3c28d5, v182
	v_fmac_f32_e32 v111, 0x3dbcf732, v139
	v_mov_b32_e32 v113, v238
	v_add_f32_e32 v111, v101, v111
	v_fmac_f32_e32 v113, 0xbf7ba420, v140
	v_mul_f32_e32 v239, 0x3f763a35, v183
	v_add_f32_e32 v111, v113, v111
	v_mov_b32_e32 v113, v239
	s_mov_b32 s19, 0x3dbcf732
	v_fmac_f32_e32 v113, 0xbe8c1d8e, v141
	v_mul_f32_e32 v240, 0x3eb8f4ab, v184
	v_add_f32_e32 v111, v113, v111
	v_mov_b32_e32 v113, v240
	v_fmac_f32_e32 v163, 0xbf06c442, v131
	v_fmac_f32_e32 v113, 0x3f6eb680, v142
	v_mul_f32_e32 v241, 0xbf65296c, v185
	v_fmac_f32_e32 v164, 0x3f65296c, v132
	v_add_f32_e32 v111, v113, v111
	v_mov_b32_e32 v113, v241
	v_fmac_f32_e32 v165, 0xbf7ee86f, v133
	v_fmac_f32_e32 v113, 0x3ee437d1, v143
	v_mul_f32_e32 v242, 0xbf06c442, v186
	v_fmac_f32_e32 v166, 0x3f4c4adb, v134
	;; [unrolled: 6-line block ×4, first 2 shown]
	v_add_f32_e32 v111, v113, v111
	v_mov_b32_e32 v113, v244
	v_fmac_f32_e32 v113, 0x3f3d2fb0, v146
	v_mul_f32_e32 v245, 0x3ee437d1, v173
	v_fma_f32 v74, v140, s17, -v161
	v_add_f32_e32 v111, v113, v111
	v_mov_b32_e32 v113, v245
	v_mul_f32_e32 v246, 0xbf1a4643, v174
	v_fmac_f32_e32 v113, 0x3f65296c, v131
	v_mov_b32_e32 v114, v246
	v_add_f32_e32 v113, v102, v113
	v_fmac_f32_e32 v114, 0x3f4c4adb, v132
	v_mul_f32_e32 v247, 0xbf7ba420, v175
	v_add_f32_e32 v113, v114, v113
	v_mov_b32_e32 v114, v247
	v_fmac_f32_e32 v114, 0xbe3c28d5, v133
	v_mul_f32_e32 v248, 0xbe8c1d8e, v176
	v_add_f32_e32 v113, v114, v113
	v_mov_b32_e32 v114, v248
	v_fmac_f32_e32 v197, 0xbf4c4adb, v131
	v_fmac_f32_e32 v114, 0xbf763a35, v134
	v_mul_f32_e32 v249, 0x3f3d2fb0, v177
	v_fmac_f32_e32 v198, 0x3f763a35, v132
	v_add_f32_e32 v113, v114, v113
	v_mov_b32_e32 v114, v249
	v_fmac_f32_e32 v199, 0xbeb8f4ab, v133
	v_fmac_f32_e32 v114, 0xbf2c7751, v135
	v_mul_f32_e32 v250, 0x3f6eb680, v178
	v_fmac_f32_e32 v200, 0xbf06c442, v134
	v_add_f32_e32 v113, v114, v113
	v_mov_b32_e32 v114, v250
	s_waitcnt vmcnt(0)
	v_fma_f32 v72, v142, s16, -v72
	v_add_f32_e32 v2, v72, v2
	buffer_load_dword v72, off, s[20:23], 0 offset:64 ; 4-byte Folded Reload
	v_fmac_f32_e32 v201, 0x3f7ee86f, v135
	v_fmac_f32_e32 v114, 0x3eb8f4ab, v136
	v_mul_f32_e32 v251, 0x3dbcf732, v179
	v_fmac_f32_e32 v202, 0xbf2c7751, v136
	v_add_f32_e32 v113, v114, v113
	v_mov_b32_e32 v114, v251
	v_fmac_f32_e32 v203, 0xbe3c28d5, v137
	v_fmac_f32_e32 v114, 0x3f7ee86f, v137
	v_mul_f32_e32 v252, 0xbf59a7d5, v180
	v_fmac_f32_e32 v204, 0x3f65296c, v138
	v_add_f32_e32 v113, v114, v113
	v_mov_b32_e32 v114, v252
	v_fmac_f32_e32 v114, 0x3f06c442, v138
	v_mul_f32_e32 v253, 0xbf65296c, v181
	v_fma_f32 v76, v140, s18, -v206
	v_add_f32_e32 v114, v114, v113
	v_mov_b32_e32 v113, v253
	v_mul_f32_e32 v254, 0xbf4c4adb, v182
	v_fmac_f32_e32 v113, 0x3ee437d1, v139
	v_mov_b32_e32 v171, v254
	v_add_f32_e32 v113, v101, v113
	v_fmac_f32_e32 v171, 0xbf1a4643, v140
	v_mul_f32_e32 v255, 0x3e3c28d5, v183
	v_add_f32_e32 v113, v171, v113
	v_mov_b32_e32 v171, v255
	v_fmac_f32_e32 v171, 0xbf7ba420, v141
	v_mul_f32_e32 v117, 0x3f763a35, v184
	v_add_f32_e32 v113, v171, v113
	v_mov_b32_e32 v171, v117
	v_fmac_f32_e32 v213, 0xbf763a35, v131
	v_fmac_f32_e32 v171, 0xbe8c1d8e, v142
	v_mul_f32_e32 v129, 0x3f2c7751, v185
	v_fmac_f32_e32 v214, 0x3f06c442, v132
	v_add_f32_e32 v113, v171, v113
	v_mov_b32_e32 v171, v129
	v_fmac_f32_e32 v215, 0x3f2c7751, v133
	v_fmac_f32_e32 v171, 0x3f3d2fb0, v143
	v_mul_f32_e32 v130, 0xbeb8f4ab, v186
	v_fmac_f32_e32 v216, 0xbf65296c, v134
	;; [unrolled: 6-line block ×3, first 2 shown]
	v_add_f32_e32 v113, v171, v113
	v_mov_b32_e32 v171, v115
	v_fmac_f32_e32 v219, 0xbeb8f4ab, v137
	v_fmac_f32_e32 v171, 0x3dbcf732, v145
	buffer_store_dword v120, off, s[20:23], 0 ; 4-byte Folded Spill
	v_mul_f32_e32 v120, 0xbf06c442, v188
	v_fmac_f32_e32 v220, 0xbf4c4adb, v138
	v_add_f32_e32 v113, v171, v113
	v_mov_b32_e32 v171, v120
	v_fmac_f32_e32 v171, 0xbf59a7d5, v146
	buffer_store_dword v121, off, s[20:23], 0 offset:4 ; 4-byte Folded Spill
	v_mul_f32_e32 v121, 0x3f3d2fb0, v173
	v_fma_f32 v78, v140, s13, -v222
	v_add_f32_e32 v113, v171, v113
	v_mov_b32_e32 v171, v121
	buffer_store_dword v122, off, s[20:23], 0 offset:8 ; 4-byte Folded Spill
	v_mul_f32_e32 v122, 0x3dbcf732, v174
	v_fmac_f32_e32 v171, 0x3f2c7751, v131
	v_mov_b32_e32 v172, v122
	v_add_f32_e32 v171, v102, v171
	v_fmac_f32_e32 v172, 0x3f7ee86f, v132
	buffer_store_dword v123, off, s[20:23], 0 offset:12 ; 4-byte Folded Spill
	v_mul_f32_e32 v123, 0xbf1a4643, v175
	v_add_f32_e32 v171, v172, v171
	v_mov_b32_e32 v172, v123
	v_fmac_f32_e32 v172, 0x3f4c4adb, v133
	buffer_store_dword v124, off, s[20:23], 0 offset:16 ; 4-byte Folded Spill
	v_mul_f32_e32 v124, 0xbf7ba420, v176
	v_add_f32_e32 v171, v172, v171
	v_mov_b32_e32 v172, v124
	v_fmac_f32_e32 v229, 0xbf7ee86f, v131
	v_fmac_f32_e32 v172, 0x3e3c28d5, v134
	buffer_store_dword v125, off, s[20:23], 0 offset:20 ; 4-byte Folded Spill
	v_mul_f32_e32 v125, 0xbf59a7d5, v177
	s_waitcnt vmcnt(6)
	v_fma_f32 v72, v143, s15, -v72
	v_add_f32_e32 v2, v72, v2
	buffer_load_dword v72, off, s[20:23], 0 offset:68 ; 4-byte Folded Reload
	v_fmac_f32_e32 v230, 0xbe3c28d5, v132
	v_add_f32_e32 v171, v172, v171
	v_mov_b32_e32 v172, v125
	v_fmac_f32_e32 v231, 0x3f763a35, v133
	v_fmac_f32_e32 v172, 0xbf06c442, v135
	buffer_store_dword v126, off, s[20:23], 0 offset:24 ; 4-byte Folded Spill
	v_mul_f32_e32 v126, 0xbe8c1d8e, v178
	v_fmac_f32_e32 v232, 0x3eb8f4ab, v134
	v_add_f32_e32 v171, v172, v171
	v_mov_b32_e32 v172, v126
	v_fmac_f32_e32 v233, 0xbf65296c, v135
	v_fmac_f32_e32 v172, 0xbf763a35, v136
	buffer_store_dword v127, off, s[20:23], 0 offset:28 ; 4-byte Folded Spill
	v_mul_f32_e32 v127, 0x3ee437d1, v179
	v_fmac_f32_e32 v234, 0xbf06c442, v136
	v_add_f32_e32 v171, v172, v171
	v_mov_b32_e32 v172, v127
	v_mul_f32_e32 v128, 0x3f6eb680, v180
	v_fmac_f32_e32 v235, 0x3f4c4adb, v137
	v_fmac_f32_e32 v172, 0xbf65296c, v137
	v_mov_b32_e32 v104, v128
	v_fmac_f32_e32 v236, 0x3f2c7751, v138
	v_add_f32_e32 v171, v172, v171
	v_fmac_f32_e32 v104, 0xbeb8f4ab, v138
	v_add_f32_e32 v172, v104, v171
	v_mul_f32_e32 v104, 0xbf2c7751, v181
	v_fma_f32 v80, v140, s12, -v238
	v_mov_b32_e32 v171, v104
	v_mul_f32_e32 v103, 0xbf7ee86f, v182
	v_fmac_f32_e32 v171, 0x3f3d2fb0, v139
	v_mov_b32_e32 v105, v103
	v_add_f32_e32 v171, v101, v171
	v_fmac_f32_e32 v105, 0x3dbcf732, v140
	v_mul_f32_e32 v189, 0xbf4c4adb, v183
	v_add_f32_e32 v105, v105, v171
	v_mov_b32_e32 v171, v189
	v_fmac_f32_e32 v171, 0xbf1a4643, v141
	v_mul_f32_e32 v190, 0xbe3c28d5, v184
	v_add_f32_e32 v105, v171, v105
	v_mov_b32_e32 v171, v190
	v_fmac_f32_e32 v245, 0xbf65296c, v131
	v_fmac_f32_e32 v171, 0xbf7ba420, v142
	v_mul_f32_e32 v191, 0x3f06c442, v185
	v_fmac_f32_e32 v246, 0xbf4c4adb, v132
	v_add_f32_e32 v105, v171, v105
	v_mov_b32_e32 v171, v191
	v_fmac_f32_e32 v247, 0x3e3c28d5, v133
	v_fmac_f32_e32 v171, 0xbf59a7d5, v143
	v_mul_f32_e32 v192, 0x3f763a35, v186
	v_fmac_f32_e32 v248, 0x3f763a35, v134
	;; [unrolled: 6-line block ×4, first 2 shown]
	v_add_f32_e32 v105, v171, v105
	v_mov_b32_e32 v171, v194
	v_fmac_f32_e32 v171, 0x3f6eb680, v146
	v_fma_f32 v82, v140, s15, -v254
	v_add_f32_e32 v171, v171, v105
	v_mul_f32_e32 v105, 0x3f6eb680, v173
	v_mov_b32_e32 v173, v105
	v_mul_f32_e32 v195, 0x3f3d2fb0, v174
	v_fmac_f32_e32 v173, 0x3eb8f4ab, v131
	v_mov_b32_e32 v174, v195
	v_add_f32_e32 v173, v102, v173
	v_fmac_f32_e32 v174, 0x3f2c7751, v132
	v_mul_f32_e32 v175, 0x3ee437d1, v175
	v_add_f32_e32 v173, v174, v173
	v_mov_b32_e32 v174, v175
	v_fmac_f32_e32 v174, 0x3f65296c, v133
	v_mul_f32_e32 v176, 0x3dbcf732, v176
	s_waitcnt vmcnt(2)
	v_fma_f32 v72, v144, s17, -v72
	v_add_f32_e32 v2, v72, v2
	buffer_load_dword v72, off, s[20:23], 0 offset:72 ; 4-byte Folded Reload
	v_fmac_f32_e32 v121, 0xbf2c7751, v131
	v_add_f32_e32 v173, v174, v173
	v_mov_b32_e32 v174, v176
	v_fmac_f32_e32 v122, 0xbf7ee86f, v132
	v_fmac_f32_e32 v174, 0x3f7ee86f, v134
	v_mul_f32_e32 v177, 0xbe8c1d8e, v177
	v_fmac_f32_e32 v123, 0xbf4c4adb, v133
	v_add_f32_e32 v173, v174, v173
	v_mov_b32_e32 v174, v177
	v_fmac_f32_e32 v124, 0xbe3c28d5, v134
	v_fmac_f32_e32 v174, 0x3f763a35, v135
	v_mul_f32_e32 v178, 0xbf1a4643, v178
	;; [unrolled: 6-line block ×4, first 2 shown]
	v_add_f32_e32 v173, v174, v173
	v_mov_b32_e32 v174, v180
	v_fma_f32 v84, v140, s19, -v103
	v_fmac_f32_e32 v174, 0x3e3c28d5, v138
	v_mul_f32_e32 v181, 0xbeb8f4ab, v181
	v_add_f32_e32 v174, v174, v173
	v_mov_b32_e32 v173, v181
	v_mul_f32_e32 v196, 0xbf2c7751, v182
	v_fmac_f32_e32 v173, 0x3f6eb680, v139
	v_mov_b32_e32 v182, v196
	v_add_f32_e32 v173, v101, v173
	v_fmac_f32_e32 v182, 0x3f3d2fb0, v140
	v_add_f32_e32 v173, v182, v173
	v_mul_f32_e32 v182, 0xbf65296c, v183
	v_mov_b32_e32 v183, v182
	v_fmac_f32_e32 v105, 0xbeb8f4ab, v131
	v_fmac_f32_e32 v183, 0x3ee437d1, v141
	v_fmac_f32_e32 v195, 0xbf2c7751, v132
	v_add_f32_e32 v173, v183, v173
	v_mul_f32_e32 v183, 0xbf7ee86f, v184
	v_fmac_f32_e32 v175, 0xbf65296c, v133
	v_mov_b32_e32 v184, v183
	v_fmac_f32_e32 v176, 0xbf7ee86f, v134
	v_fmac_f32_e32 v184, 0x3dbcf732, v142
	;; [unrolled: 1-line block ×3, first 2 shown]
	v_add_f32_e32 v173, v184, v173
	v_mul_f32_e32 v184, 0xbf763a35, v185
	v_fmac_f32_e32 v178, 0xbf4c4adb, v136
	v_mov_b32_e32 v185, v184
	v_fmac_f32_e32 v179, 0xbf06c442, v137
	v_fmac_f32_e32 v185, 0xbe8c1d8e, v143
	;; [unrolled: 1-line block ×3, first 2 shown]
	v_add_f32_e32 v173, v185, v173
	v_mul_f32_e32 v185, 0xbf4c4adb, v186
	v_mov_b32_e32 v186, v185
	v_fma_f32 v86, v140, s16, -v196
	v_fmac_f32_e32 v186, 0xbf1a4643, v144
	v_add_f32_e32 v173, v186, v173
	v_mul_f32_e32 v186, 0xbf06c442, v187
	v_mov_b32_e32 v187, v186
	v_fmac_f32_e32 v187, 0xbf59a7d5, v145
	v_add_f32_e32 v173, v187, v173
	v_mul_f32_e32 v187, 0xbe3c28d5, v188
	v_mov_b32_e32 v188, v187
	v_fmac_f32_e32 v188, 0xbf7ba420, v146
	v_add_f32_e32 v173, v188, v173
	s_waitcnt vmcnt(0)
	v_fma_f32 v72, v145, s18, -v72
	v_add_f32_e32 v2, v72, v2
	buffer_load_dword v72, off, s[20:23], 0 offset:76 ; 4-byte Folded Reload
	s_waitcnt vmcnt(0)
	v_fma_f32 v72, v146, s19, -v72
	v_add_f32_e32 v2, v72, v2
	v_add_f32_e32 v72, v102, v163
	v_add_f32_e32 v72, v164, v72
	v_add_f32_e32 v72, v165, v72
	v_add_f32_e32 v72, v166, v72
	v_add_f32_e32 v72, v167, v72
	v_add_f32_e32 v72, v168, v72
	v_add_f32_e32 v72, v169, v72
	v_add_f32_e32 v73, v170, v72
	v_fma_f32 v72, v139, s13, -v162
	v_add_f32_e32 v72, v101, v72
	v_add_f32_e32 v72, v74, v72
	v_fma_f32 v74, v141, s19, -v160
	v_add_f32_e32 v72, v74, v72
	v_fma_f32 v74, v142, s15, -v159
	v_add_f32_e32 v72, v74, v72
	v_fma_f32 v74, v143, s14, -v158
	v_add_f32_e32 v72, v74, v72
	v_fma_f32 v74, v144, s12, -v157
	v_add_f32_e32 v72, v74, v72
	v_fma_f32 v74, v145, s16, -v156
	v_add_f32_e32 v72, v74, v72
	v_fma_f32 v74, v146, s18, -v155
	v_add_f32_e32 v72, v74, v72
	v_add_f32_e32 v74, v102, v197
	v_add_f32_e32 v74, v198, v74
	v_add_f32_e32 v74, v199, v74
	v_add_f32_e32 v74, v200, v74
	v_add_f32_e32 v74, v201, v74
	v_add_f32_e32 v74, v202, v74
	v_add_f32_e32 v74, v203, v74
	v_add_f32_e32 v75, v204, v74
	v_fma_f32 v74, v139, s15, -v106
	v_add_f32_e32 v74, v101, v74
	v_add_f32_e32 v74, v76, v74
	v_fma_f32 v76, v141, s14, -v207
	v_add_f32_e32 v74, v76, v74
	v_fma_f32 v76, v142, s13, -v208
	v_add_f32_e32 v74, v76, v74
	v_fma_f32 v76, v143, s19, -v209
	v_add_f32_e32 v74, v76, v74
	v_fma_f32 v76, v144, s16, -v210
	v_add_f32_e32 v74, v76, v74
	v_fma_f32 v76, v145, s12, -v211
	v_add_f32_e32 v74, v76, v74
	;; [unrolled: 23-line block ×7, first 2 shown]
	v_fma_f32 v86, v146, s12, -v187
	v_add_f32_e32 v84, v86, v84
	v_mul_lo_u16_e32 v86, 17, v116
	v_lshl_add_u32 v86, v86, 3, v87
	buffer_load_dword v120, off, s[20:23], 0 ; 4-byte Folded Reload
	buffer_load_dword v121, off, s[20:23], 0 offset:4 ; 4-byte Folded Reload
	buffer_load_dword v122, off, s[20:23], 0 offset:8 ; 4-byte Folded Reload
	;; [unrolled: 1-line block ×7, first 2 shown]
	ds_write2_b64 v86, v[0:1], v[173:174] offset1:1
	ds_write2_b64 v86, v[171:172], v[113:114] offset0:2 offset1:3
	ds_write2_b64 v86, v[111:112], v[109:110] offset0:4 offset1:5
	buffer_load_dword v0, off, s[20:23], 0 offset:40 ; 4-byte Folded Reload
	buffer_load_dword v1, off, s[20:23], 0 offset:44 ; 4-byte Folded Reload
	v_add_u32_e32 v106, 0x2a8, v119
	v_lshlrev_b32_e32 v115, 3, v116
	v_add_u32_e32 v105, 0x550, v119
	s_waitcnt vmcnt(0)
	ds_write2_b64 v86, v[107:108], v[0:1] offset0:6 offset1:7
	buffer_load_dword v0, off, s[20:23], 0 offset:32 ; 4-byte Folded Reload
	buffer_load_dword v1, off, s[20:23], 0 offset:36 ; 4-byte Folded Reload
	s_waitcnt vmcnt(0)
	ds_write2_b64 v86, v[0:1], v[2:3] offset0:8 offset1:9
	ds_write2_b64 v86, v[72:73], v[74:75] offset0:10 offset1:11
	ds_write2_b64 v86, v[76:77], v[78:79] offset0:12 offset1:13
	ds_write2_b64 v86, v[80:81], v[82:83] offset0:14 offset1:15
	ds_write_b64 v86, v[84:85] offset:128
.LBB0_13:
	s_or_b64 exec, exec, s[2:3]
	v_add_u32_e32 v0, 0x800, v118
	s_waitcnt lgkmcnt(0)
	s_barrier
	ds_read2_b64 v[77:80], v0 offset0:84 offset1:169
	v_add_u32_e32 v1, 0x1800, v118
	ds_read2_b64 v[81:84], v1 offset0:82 offset1:167
	v_add_u32_e32 v2, 0xc00, v118
	ds_read2_b64 v[73:76], v118 offset1:85
	ds_read2_b64 v[85:88], v2 offset0:126 offset1:211
	ds_read2_b64 v[89:92], v118 offset0:170 offset1:255
	v_add_u32_e32 v3, 0x1c00, v118
	ds_read2_b64 v[93:96], v3 offset0:124 offset1:209
	v_add_u32_e32 v72, 0x1000, v118
	s_waitcnt lgkmcnt(5)
	v_mul_f32_e32 v99, v9, v80
	v_mul_f32_e32 v9, v9, v79
	ds_read2_b64 v[101:104], v72 offset0:168 offset1:253
	ds_read_b64 v[97:98], v118 offset:9520
	v_fmac_f32_e32 v99, v8, v79
	v_fma_f32 v9, v8, v80, -v9
	s_waitcnt lgkmcnt(6)
	v_mul_f32_e32 v79, v11, v82
	v_mul_f32_e32 v8, v11, v81
	s_waitcnt lgkmcnt(4)
	v_mul_f32_e32 v80, v5, v86
	v_mul_f32_e32 v5, v5, v85
	v_fmac_f32_e32 v79, v10, v81
	v_fma_f32 v10, v10, v82, -v8
	v_fmac_f32_e32 v80, v4, v85
	v_fma_f32 v81, v4, v86, -v5
	v_mul_f32_e32 v82, v7, v84
	v_mul_f32_e32 v4, v7, v83
	v_fmac_f32_e32 v82, v6, v83
	v_fma_f32 v83, v6, v84, -v4
	v_mul_f32_e32 v4, v17, v87
	v_mul_f32_e32 v84, v17, v88
	v_fma_f32 v17, v16, v88, -v4
	s_waitcnt lgkmcnt(2)
	v_mul_f32_e32 v85, v19, v94
	v_mul_f32_e32 v4, v19, v93
	v_fmac_f32_e32 v84, v16, v87
	v_fmac_f32_e32 v85, v18, v93
	v_fma_f32 v19, v18, v94, -v4
	s_waitcnt lgkmcnt(1)
	v_mul_f32_e32 v4, v13, v101
	v_fma_f32 v87, v12, v102, -v4
	v_mul_f32_e32 v88, v15, v96
	v_mul_f32_e32 v4, v15, v95
	v_add_f32_e32 v15, v84, v85
	v_fma_f32 v16, -0.5, v15, v89
	v_sub_f32_e32 v15, v17, v19
	v_mov_b32_e32 v18, v16
	v_mul_f32_e32 v86, v13, v102
	v_fmac_f32_e32 v18, 0xbf5db3d7, v15
	v_fmac_f32_e32 v16, 0x3f5db3d7, v15
	v_add_f32_e32 v15, v90, v17
	v_add_f32_e32 v17, v17, v19
	v_fmac_f32_e32 v86, v12, v101
	v_fmac_f32_e32 v88, v14, v95
	v_fma_f32 v93, v14, v96, -v4
	v_mul_f32_e32 v94, v21, v104
	v_mul_f32_e32 v4, v21, v103
	v_add_f32_e32 v5, v99, v79
	v_fma_f32 v17, -0.5, v17, v90
	v_fmac_f32_e32 v94, v20, v103
	v_fma_f32 v95, v20, v104, -v4
	v_fma_f32 v6, -0.5, v5, v73
	v_add_f32_e32 v15, v15, v19
	v_sub_f32_e32 v20, v84, v85
	v_mov_b32_e32 v19, v17
	v_add_f32_e32 v21, v86, v88
	s_waitcnt lgkmcnt(0)
	v_mul_f32_e32 v96, v23, v98
	v_mul_f32_e32 v4, v23, v97
	v_sub_f32_e32 v5, v9, v10
	v_mov_b32_e32 v8, v6
	v_add_f32_e32 v7, v9, v10
	v_fmac_f32_e32 v19, 0x3f5db3d7, v20
	v_fmac_f32_e32 v17, 0xbf5db3d7, v20
	v_add_f32_e32 v20, v91, v86
	v_fma_f32 v91, -0.5, v21, v91
	v_fmac_f32_e32 v96, v22, v97
	v_fma_f32 v97, v22, v98, -v4
	v_fmac_f32_e32 v8, 0xbf5db3d7, v5
	v_fmac_f32_e32 v6, 0x3f5db3d7, v5
	v_add_f32_e32 v5, v74, v9
	v_fma_f32 v7, -0.5, v7, v74
	v_sub_f32_e32 v21, v87, v93
	v_mov_b32_e32 v22, v91
	v_add_f32_e32 v23, v87, v93
	v_add_f32_e32 v5, v5, v10
	v_sub_f32_e32 v10, v99, v79
	v_mov_b32_e32 v9, v7
	v_add_f32_e32 v11, v80, v82
	v_fmac_f32_e32 v22, 0xbf5db3d7, v21
	v_fmac_f32_e32 v91, 0x3f5db3d7, v21
	v_add_f32_e32 v21, v92, v87
	v_fmac_f32_e32 v92, -0.5, v23
	v_add_f32_e32 v4, v73, v99
	v_fmac_f32_e32 v9, 0x3f5db3d7, v10
	v_fmac_f32_e32 v7, 0xbf5db3d7, v10
	v_add_f32_e32 v10, v75, v80
	v_fma_f32 v75, -0.5, v11, v75
	v_sub_f32_e32 v73, v86, v88
	v_mov_b32_e32 v23, v92
	v_add_f32_e32 v74, v94, v96
	v_sub_f32_e32 v11, v81, v83
	v_mov_b32_e32 v12, v75
	v_add_f32_e32 v13, v81, v83
	v_fmac_f32_e32 v23, 0x3f5db3d7, v73
	v_fmac_f32_e32 v92, 0xbf5db3d7, v73
	v_add_f32_e32 v73, v77, v94
	v_fma_f32 v77, -0.5, v74, v77
	v_add_f32_e32 v4, v4, v79
	v_fmac_f32_e32 v12, 0xbf5db3d7, v11
	v_fmac_f32_e32 v75, 0x3f5db3d7, v11
	v_add_f32_e32 v11, v76, v81
	v_fmac_f32_e32 v76, -0.5, v13
	v_sub_f32_e32 v14, v80, v82
	v_sub_f32_e32 v74, v95, v97
	v_mov_b32_e32 v79, v77
	v_add_f32_e32 v80, v95, v97
	v_mov_b32_e32 v13, v76
	v_fmac_f32_e32 v79, 0xbf5db3d7, v74
	v_fmac_f32_e32 v77, 0x3f5db3d7, v74
	v_add_f32_e32 v74, v78, v95
	v_fmac_f32_e32 v78, -0.5, v80
	v_fmac_f32_e32 v13, 0x3f5db3d7, v14
	v_fmac_f32_e32 v76, 0xbf5db3d7, v14
	v_add_f32_e32 v14, v89, v84
	v_sub_f32_e32 v81, v94, v96
	v_mov_b32_e32 v80, v78
	v_add_f32_e32 v10, v10, v82
	v_add_f32_e32 v11, v11, v83
	;; [unrolled: 1-line block ×7, first 2 shown]
	v_fmac_f32_e32 v80, 0x3f5db3d7, v81
	v_fmac_f32_e32 v78, 0xbf5db3d7, v81
	s_barrier
	ds_write2_b64 v120, v[4:5], v[8:9] offset1:17
	ds_write_b64 v120, v[6:7] offset:272
	ds_write2_b64 v121, v[10:11], v[12:13] offset1:17
	ds_write_b64 v121, v[75:76] offset:272
	;; [unrolled: 2-line block ×5, first 2 shown]
	s_waitcnt lgkmcnt(0)
	s_barrier
	ds_read2_b64 v[4:7], v118 offset1:85
	ds_read2_b64 v[8:11], v118 offset0:170 offset1:255
	ds_read2_b64 v[12:15], v2 offset0:126 offset1:211
	;; [unrolled: 1-line block ×6, first 2 shown]
	ds_read_b64 v[81:82], v118 offset:9520
	s_waitcnt lgkmcnt(6)
	v_mul_f32_e32 v83, v29, v11
	v_fmac_f32_e32 v83, v28, v10
	v_mul_f32_e32 v10, v29, v10
	v_fma_f32 v28, v28, v11, -v10
	s_waitcnt lgkmcnt(5)
	v_mul_f32_e32 v29, v31, v13
	v_mul_f32_e32 v10, v31, v12
	v_fmac_f32_e32 v29, v30, v12
	v_fma_f32 v30, v30, v13, -v10
	s_waitcnt lgkmcnt(4)
	v_mul_f32_e32 v31, v25, v19
	v_mul_f32_e32 v10, v25, v18
	v_fmac_f32_e32 v31, v24, v18
	;; [unrolled: 5-line block ×3, first 2 shown]
	v_fma_f32 v20, v26, v21, -v10
	s_waitcnt lgkmcnt(2)
	v_mul_f32_e32 v10, v37, v73
	v_mul_f32_e32 v25, v37, v74
	v_fma_f32 v26, v36, v74, -v10
	v_mul_f32_e32 v10, v39, v14
	v_fmac_f32_e32 v25, v36, v73
	v_fma_f32 v36, v38, v15, -v10
	s_waitcnt lgkmcnt(1)
	v_mul_f32_e32 v37, v33, v78
	v_mul_f32_e32 v10, v33, v77
	v_add_f32_e32 v11, v29, v31
	v_mul_f32_e32 v27, v39, v15
	v_fmac_f32_e32 v37, v32, v77
	v_fma_f32 v32, v32, v78, -v10
	v_mul_f32_e32 v33, v35, v23
	v_mul_f32_e32 v10, v35, v22
	v_fma_f32 v12, -0.5, v11, v4
	v_fmac_f32_e32 v27, v38, v14
	v_fmac_f32_e32 v33, v34, v22
	v_fma_f32 v34, v34, v23, -v10
	v_mul_f32_e32 v10, v45, v75
	v_mul_f32_e32 v39, v47, v17
	v_sub_f32_e32 v11, v28, v20
	v_mov_b32_e32 v14, v12
	v_mul_f32_e32 v35, v45, v76
	v_fma_f32 v38, v44, v76, -v10
	v_fmac_f32_e32 v39, v46, v16
	v_mul_f32_e32 v10, v47, v16
	v_fmac_f32_e32 v14, 0xbf737871, v11
	v_sub_f32_e32 v13, v30, v18
	v_sub_f32_e32 v15, v83, v29
	;; [unrolled: 1-line block ×3, first 2 shown]
	v_fmac_f32_e32 v12, 0x3f737871, v11
	v_fmac_f32_e32 v35, v44, v75
	v_fma_f32 v44, v46, v17, -v10
	v_mul_f32_e32 v45, v41, v80
	v_mul_f32_e32 v10, v41, v79
	v_fmac_f32_e32 v14, 0xbf167918, v13
	v_add_f32_e32 v15, v15, v16
	v_fmac_f32_e32 v12, 0x3f167918, v13
	v_fmac_f32_e32 v45, v40, v79
	v_fma_f32 v40, v40, v80, -v10
	s_waitcnt lgkmcnt(0)
	v_mul_f32_e32 v41, v43, v82
	v_mul_f32_e32 v10, v43, v81
	v_fmac_f32_e32 v14, 0x3e9e377a, v15
	v_fmac_f32_e32 v12, 0x3e9e377a, v15
	v_add_f32_e32 v15, v83, v19
	v_fmac_f32_e32 v41, v42, v81
	v_fma_f32 v42, v42, v82, -v10
	v_add_f32_e32 v10, v4, v83
	v_fma_f32 v4, -0.5, v15, v4
	v_mov_b32_e32 v16, v4
	v_add_f32_e32 v10, v10, v29
	v_fmac_f32_e32 v16, 0x3f737871, v13
	v_sub_f32_e32 v15, v29, v83
	v_sub_f32_e32 v17, v31, v19
	v_fmac_f32_e32 v4, 0xbf737871, v13
	v_add_f32_e32 v13, v30, v18
	v_add_f32_e32 v10, v10, v31
	v_fmac_f32_e32 v16, 0xbf167918, v11
	v_add_f32_e32 v15, v15, v17
	v_fmac_f32_e32 v4, 0x3f167918, v11
	v_fma_f32 v13, -0.5, v13, v5
	v_add_f32_e32 v10, v10, v19
	v_fmac_f32_e32 v16, 0x3e9e377a, v15
	v_fmac_f32_e32 v4, 0x3e9e377a, v15
	v_sub_f32_e32 v19, v83, v19
	v_mov_b32_e32 v15, v13
	v_fmac_f32_e32 v15, 0x3f737871, v19
	v_sub_f32_e32 v21, v29, v31
	v_sub_f32_e32 v17, v28, v30
	;; [unrolled: 1-line block ×3, first 2 shown]
	v_fmac_f32_e32 v13, 0xbf737871, v19
	v_fmac_f32_e32 v15, 0x3f167918, v21
	v_add_f32_e32 v17, v17, v22
	v_fmac_f32_e32 v13, 0xbf167918, v21
	v_fmac_f32_e32 v15, 0x3e9e377a, v17
	v_fmac_f32_e32 v13, 0x3e9e377a, v17
	v_add_f32_e32 v17, v28, v20
	v_add_f32_e32 v11, v5, v28
	v_fma_f32 v5, -0.5, v17, v5
	v_mov_b32_e32 v17, v5
	v_add_f32_e32 v11, v11, v30
	v_fmac_f32_e32 v17, 0xbf737871, v21
	v_fmac_f32_e32 v5, 0x3f737871, v21
	v_add_f32_e32 v11, v11, v18
	v_fmac_f32_e32 v17, 0x3f167918, v19
	v_fmac_f32_e32 v5, 0xbf167918, v19
	v_add_f32_e32 v19, v27, v37
	v_add_f32_e32 v11, v11, v20
	v_sub_f32_e32 v22, v30, v28
	v_sub_f32_e32 v18, v18, v20
	v_fma_f32 v20, -0.5, v19, v6
	v_add_f32_e32 v18, v22, v18
	v_sub_f32_e32 v19, v26, v34
	v_mov_b32_e32 v22, v20
	v_fmac_f32_e32 v22, 0xbf737871, v19
	v_sub_f32_e32 v21, v36, v32
	v_sub_f32_e32 v23, v25, v27
	;; [unrolled: 1-line block ×3, first 2 shown]
	v_fmac_f32_e32 v20, 0x3f737871, v19
	v_fmac_f32_e32 v22, 0xbf167918, v21
	v_add_f32_e32 v23, v23, v24
	v_fmac_f32_e32 v20, 0x3f167918, v21
	v_fmac_f32_e32 v22, 0x3e9e377a, v23
	;; [unrolled: 1-line block ×3, first 2 shown]
	v_add_f32_e32 v23, v25, v33
	v_fmac_f32_e32 v17, 0x3e9e377a, v18
	v_fmac_f32_e32 v5, 0x3e9e377a, v18
	v_add_f32_e32 v18, v6, v25
	v_fma_f32 v6, -0.5, v23, v6
	v_mov_b32_e32 v24, v6
	v_fmac_f32_e32 v24, 0x3f737871, v21
	v_sub_f32_e32 v23, v27, v25
	v_sub_f32_e32 v28, v37, v33
	v_fmac_f32_e32 v6, 0xbf737871, v21
	v_add_f32_e32 v21, v36, v32
	v_fmac_f32_e32 v24, 0xbf167918, v19
	v_add_f32_e32 v23, v23, v28
	v_fmac_f32_e32 v6, 0x3f167918, v19
	v_fma_f32 v21, -0.5, v21, v7
	v_fmac_f32_e32 v24, 0x3e9e377a, v23
	v_fmac_f32_e32 v6, 0x3e9e377a, v23
	v_sub_f32_e32 v28, v25, v33
	v_mov_b32_e32 v23, v21
	v_add_f32_e32 v18, v18, v27
	v_fmac_f32_e32 v23, 0x3f737871, v28
	v_sub_f32_e32 v27, v27, v37
	v_sub_f32_e32 v25, v26, v36
	;; [unrolled: 1-line block ×3, first 2 shown]
	v_fmac_f32_e32 v21, 0xbf737871, v28
	v_fmac_f32_e32 v23, 0x3f167918, v27
	v_add_f32_e32 v25, v25, v29
	v_fmac_f32_e32 v21, 0xbf167918, v27
	v_fmac_f32_e32 v23, 0x3e9e377a, v25
	v_fmac_f32_e32 v21, 0x3e9e377a, v25
	v_add_f32_e32 v25, v26, v34
	v_add_f32_e32 v19, v7, v26
	v_fmac_f32_e32 v7, -0.5, v25
	v_mov_b32_e32 v25, v7
	v_fmac_f32_e32 v25, 0xbf737871, v27
	v_fmac_f32_e32 v7, 0x3f737871, v27
	v_add_f32_e32 v27, v39, v45
	v_fmac_f32_e32 v25, 0x3f167918, v28
	v_fmac_f32_e32 v7, 0xbf167918, v28
	v_fma_f32 v28, -0.5, v27, v8
	v_add_f32_e32 v19, v19, v36
	v_sub_f32_e32 v26, v36, v26
	v_sub_f32_e32 v29, v32, v34
	;; [unrolled: 1-line block ×3, first 2 shown]
	v_mov_b32_e32 v30, v28
	v_add_f32_e32 v19, v19, v32
	v_add_f32_e32 v26, v26, v29
	v_fmac_f32_e32 v30, 0xbf737871, v27
	v_sub_f32_e32 v29, v44, v40
	v_sub_f32_e32 v31, v35, v39
	v_sub_f32_e32 v32, v41, v45
	v_fmac_f32_e32 v28, 0x3f737871, v27
	v_fmac_f32_e32 v30, 0xbf167918, v29
	v_add_f32_e32 v31, v31, v32
	v_fmac_f32_e32 v28, 0x3f167918, v29
	v_fmac_f32_e32 v30, 0x3e9e377a, v31
	;; [unrolled: 1-line block ×3, first 2 shown]
	v_add_f32_e32 v31, v35, v41
	v_fmac_f32_e32 v25, 0x3e9e377a, v26
	v_fmac_f32_e32 v7, 0x3e9e377a, v26
	v_add_f32_e32 v26, v8, v35
	v_fma_f32 v8, -0.5, v31, v8
	v_add_f32_e32 v18, v18, v37
	v_mov_b32_e32 v32, v8
	v_add_f32_e32 v18, v18, v33
	v_fmac_f32_e32 v32, 0x3f737871, v29
	v_sub_f32_e32 v31, v39, v35
	v_sub_f32_e32 v33, v45, v41
	v_fmac_f32_e32 v8, 0xbf737871, v29
	v_add_f32_e32 v29, v44, v40
	v_fmac_f32_e32 v32, 0xbf167918, v27
	v_add_f32_e32 v31, v31, v33
	v_fmac_f32_e32 v8, 0x3f167918, v27
	v_fma_f32 v29, -0.5, v29, v9
	v_add_f32_e32 v19, v19, v34
	v_fmac_f32_e32 v32, 0x3e9e377a, v31
	v_fmac_f32_e32 v8, 0x3e9e377a, v31
	v_sub_f32_e32 v34, v35, v41
	v_mov_b32_e32 v31, v29
	v_fmac_f32_e32 v31, 0x3f737871, v34
	v_sub_f32_e32 v35, v39, v45
	v_sub_f32_e32 v33, v38, v44
	;; [unrolled: 1-line block ×3, first 2 shown]
	v_fmac_f32_e32 v29, 0xbf737871, v34
	v_fmac_f32_e32 v31, 0x3f167918, v35
	v_add_f32_e32 v33, v33, v36
	v_fmac_f32_e32 v29, 0xbf167918, v35
	v_fmac_f32_e32 v31, 0x3e9e377a, v33
	;; [unrolled: 1-line block ×3, first 2 shown]
	v_add_f32_e32 v33, v38, v42
	v_add_f32_e32 v27, v9, v38
	v_fmac_f32_e32 v9, -0.5, v33
	v_add_f32_e32 v26, v26, v39
	v_add_f32_e32 v27, v27, v44
	v_mov_b32_e32 v33, v9
	v_sub_f32_e32 v36, v44, v38
	v_sub_f32_e32 v37, v40, v42
	v_fmac_f32_e32 v9, 0x3f737871, v35
	v_add_f32_e32 v26, v26, v45
	v_add_f32_e32 v27, v27, v40
	v_fmac_f32_e32 v33, 0xbf737871, v35
	v_add_f32_e32 v36, v36, v37
	v_fmac_f32_e32 v9, 0xbf167918, v34
	v_add_f32_e32 v26, v26, v41
	v_add_f32_e32 v27, v27, v42
	v_fmac_f32_e32 v33, 0x3f167918, v34
	v_fmac_f32_e32 v9, 0x3e9e377a, v36
	;; [unrolled: 1-line block ×3, first 2 shown]
	s_barrier
	ds_write2_b64 v125, v[10:11], v[14:15] offset1:51
	ds_write2_b64 v125, v[16:17], v[4:5] offset0:102 offset1:153
	ds_write_b64 v125, v[12:13] offset:1632
	ds_write2_b64 v126, v[18:19], v[22:23] offset1:51
	ds_write2_b64 v126, v[24:25], v[6:7] offset0:102 offset1:153
	ds_write_b64 v126, v[20:21] offset:1632
	;; [unrolled: 3-line block ×3, first 2 shown]
	s_waitcnt lgkmcnt(0)
	s_barrier
	ds_read2_b64 v[4:7], v118 offset1:85
	ds_read2_b64 v[8:11], v118 offset0:170 offset1:255
	ds_read2_b64 v[12:15], v2 offset0:126 offset1:211
	;; [unrolled: 1-line block ×6, first 2 shown]
	ds_read_b64 v[28:29], v118 offset:9520
	s_waitcnt lgkmcnt(6)
	v_mul_f32_e32 v30, v57, v11
	v_fmac_f32_e32 v30, v56, v10
	v_mul_f32_e32 v10, v57, v10
	s_waitcnt lgkmcnt(1)
	v_mul_f32_e32 v35, v53, v1
	v_fma_f32 v31, v56, v11, -v10
	v_mul_f32_e32 v10, v59, v12
	v_fmac_f32_e32 v35, v52, v0
	v_mul_f32_e32 v0, v53, v0
	v_mul_f32_e32 v32, v59, v13
	v_fma_f32 v33, v58, v13, -v10
	v_mul_f32_e32 v13, v49, v19
	v_mul_f32_e32 v10, v49, v18
	v_fma_f32 v36, v52, v1, -v0
	v_mul_f32_e32 v37, v55, v23
	v_mul_f32_e32 v0, v55, v22
	v_fmac_f32_e32 v32, v58, v12
	v_fmac_f32_e32 v13, v48, v18
	v_fma_f32 v18, v48, v19, -v10
	v_mul_f32_e32 v10, v51, v20
	v_fmac_f32_e32 v37, v54, v22
	v_fma_f32 v22, v54, v23, -v0
	v_mul_f32_e32 v0, v69, v26
	v_mul_f32_e32 v11, v51, v21
	v_fma_f32 v19, v50, v21, -v10
	v_mul_f32_e32 v21, v65, v25
	v_mul_f32_e32 v10, v65, v24
	;; [unrolled: 3-line block ×3, first 2 shown]
	v_add_f32_e32 v1, v32, v13
	v_fmac_f32_e32 v21, v64, v24
	v_fma_f32 v24, v64, v25, -v10
	v_mul_f32_e32 v10, v67, v14
	v_fma_f32 v41, v70, v17, -v0
	v_fmac_f32_e32 v42, v60, v2
	v_mul_f32_e32 v0, v61, v2
	v_fma_f32 v2, -0.5, v1, v4
	v_fmac_f32_e32 v11, v50, v20
	v_mul_f32_e32 v25, v67, v15
	v_fma_f32 v34, v66, v15, -v10
	v_sub_f32_e32 v1, v31, v19
	v_mov_b32_e32 v10, v2
	v_fmac_f32_e32 v25, v66, v14
	v_fma_f32 v43, v60, v3, -v0
	v_fmac_f32_e32 v10, 0xbf737871, v1
	v_sub_f32_e32 v3, v33, v18
	v_sub_f32_e32 v12, v30, v32
	v_sub_f32_e32 v14, v11, v13
	v_fmac_f32_e32 v2, 0x3f737871, v1
	v_fmac_f32_e32 v10, 0xbf167918, v3
	v_add_f32_e32 v12, v12, v14
	v_fmac_f32_e32 v2, 0x3f167918, v3
	s_waitcnt lgkmcnt(0)
	v_mul_f32_e32 v0, v63, v28
	v_fmac_f32_e32 v10, 0x3e9e377a, v12
	v_fmac_f32_e32 v2, 0x3e9e377a, v12
	v_add_f32_e32 v12, v30, v11
	v_fma_f32 v44, v62, v29, -v0
	v_add_f32_e32 v0, v4, v30
	v_fma_f32 v4, -0.5, v12, v4
	v_mov_b32_e32 v12, v4
	v_add_f32_e32 v0, v0, v32
	v_fmac_f32_e32 v12, 0x3f737871, v3
	v_sub_f32_e32 v14, v32, v30
	v_sub_f32_e32 v15, v13, v11
	v_fmac_f32_e32 v4, 0xbf737871, v3
	v_add_f32_e32 v3, v33, v18
	v_add_f32_e32 v0, v0, v13
	v_fmac_f32_e32 v12, 0xbf167918, v1
	v_add_f32_e32 v14, v14, v15
	v_fmac_f32_e32 v4, 0x3f167918, v1
	v_fma_f32 v3, -0.5, v3, v5
	v_mul_f32_e32 v40, v71, v17
	v_add_f32_e32 v0, v0, v11
	v_fmac_f32_e32 v12, 0x3e9e377a, v14
	v_fmac_f32_e32 v4, 0x3e9e377a, v14
	v_sub_f32_e32 v14, v30, v11
	v_mov_b32_e32 v11, v3
	v_fmac_f32_e32 v40, v70, v16
	v_fmac_f32_e32 v11, 0x3f737871, v14
	v_sub_f32_e32 v15, v32, v13
	v_sub_f32_e32 v13, v31, v33
	;; [unrolled: 1-line block ×3, first 2 shown]
	v_fmac_f32_e32 v3, 0xbf737871, v14
	v_fmac_f32_e32 v11, 0x3f167918, v15
	v_add_f32_e32 v13, v13, v16
	v_fmac_f32_e32 v3, 0xbf167918, v15
	v_fmac_f32_e32 v11, 0x3e9e377a, v13
	;; [unrolled: 1-line block ×3, first 2 shown]
	v_add_f32_e32 v13, v31, v19
	v_add_f32_e32 v1, v5, v31
	v_fma_f32 v5, -0.5, v13, v5
	v_mov_b32_e32 v13, v5
	v_fmac_f32_e32 v13, 0xbf737871, v15
	v_sub_f32_e32 v16, v33, v31
	v_sub_f32_e32 v17, v18, v19
	v_fmac_f32_e32 v5, 0x3f737871, v15
	v_fmac_f32_e32 v13, 0x3f167918, v14
	v_add_f32_e32 v16, v16, v17
	v_fmac_f32_e32 v5, 0xbf167918, v14
	v_add_f32_e32 v15, v25, v35
	v_add_f32_e32 v1, v1, v33
	v_fmac_f32_e32 v13, 0x3e9e377a, v16
	v_fmac_f32_e32 v5, 0x3e9e377a, v16
	v_fma_f32 v16, -0.5, v15, v6
	v_add_f32_e32 v1, v1, v18
	v_sub_f32_e32 v15, v24, v22
	v_mov_b32_e32 v18, v16
	v_add_f32_e32 v1, v1, v19
	v_fmac_f32_e32 v18, 0xbf737871, v15
	v_sub_f32_e32 v17, v34, v36
	v_sub_f32_e32 v19, v21, v25
	;; [unrolled: 1-line block ×3, first 2 shown]
	v_fmac_f32_e32 v16, 0x3f737871, v15
	v_fmac_f32_e32 v18, 0xbf167918, v17
	v_add_f32_e32 v19, v19, v20
	v_fmac_f32_e32 v16, 0x3f167918, v17
	v_fmac_f32_e32 v18, 0x3e9e377a, v19
	;; [unrolled: 1-line block ×3, first 2 shown]
	v_add_f32_e32 v19, v21, v37
	v_add_f32_e32 v14, v6, v21
	v_fma_f32 v6, -0.5, v19, v6
	v_mov_b32_e32 v20, v6
	v_fmac_f32_e32 v20, 0x3f737871, v17
	v_sub_f32_e32 v19, v25, v21
	v_sub_f32_e32 v23, v35, v37
	v_fmac_f32_e32 v6, 0xbf737871, v17
	v_add_f32_e32 v17, v34, v36
	v_fmac_f32_e32 v20, 0xbf167918, v15
	v_add_f32_e32 v19, v19, v23
	v_fmac_f32_e32 v6, 0x3f167918, v15
	v_fma_f32 v17, -0.5, v17, v7
	v_mul_f32_e32 v38, v69, v27
	v_fmac_f32_e32 v20, 0x3e9e377a, v19
	v_fmac_f32_e32 v6, 0x3e9e377a, v19
	v_sub_f32_e32 v23, v21, v37
	v_mov_b32_e32 v19, v17
	v_fmac_f32_e32 v38, v68, v26
	v_add_f32_e32 v14, v14, v25
	v_fmac_f32_e32 v19, 0x3f737871, v23
	v_sub_f32_e32 v25, v25, v35
	v_sub_f32_e32 v21, v24, v34
	;; [unrolled: 1-line block ×3, first 2 shown]
	v_fmac_f32_e32 v17, 0xbf737871, v23
	v_fmac_f32_e32 v19, 0x3f167918, v25
	v_add_f32_e32 v21, v21, v26
	v_fmac_f32_e32 v17, 0xbf167918, v25
	v_fmac_f32_e32 v19, 0x3e9e377a, v21
	;; [unrolled: 1-line block ×3, first 2 shown]
	v_add_f32_e32 v21, v24, v22
	v_add_f32_e32 v15, v7, v24
	v_fmac_f32_e32 v7, -0.5, v21
	v_add_f32_e32 v15, v15, v34
	v_mov_b32_e32 v21, v7
	v_add_f32_e32 v15, v15, v36
	v_fmac_f32_e32 v21, 0xbf737871, v25
	v_fmac_f32_e32 v7, 0x3f737871, v25
	v_add_f32_e32 v15, v15, v22
	v_fmac_f32_e32 v21, 0x3f167918, v23
	v_sub_f32_e32 v24, v34, v24
	v_sub_f32_e32 v22, v36, v22
	v_fmac_f32_e32 v7, 0xbf167918, v23
	v_add_f32_e32 v23, v40, v42
	v_mul_f32_e32 v27, v63, v29
	v_add_f32_e32 v22, v24, v22
	v_fma_f32 v24, -0.5, v23, v8
	v_fmac_f32_e32 v27, v62, v28
	v_sub_f32_e32 v23, v39, v44
	v_mov_b32_e32 v26, v24
	v_fmac_f32_e32 v26, 0xbf737871, v23
	v_sub_f32_e32 v25, v41, v43
	v_sub_f32_e32 v28, v38, v40
	;; [unrolled: 1-line block ×3, first 2 shown]
	v_fmac_f32_e32 v24, 0x3f737871, v23
	v_fmac_f32_e32 v26, 0xbf167918, v25
	v_add_f32_e32 v28, v28, v29
	v_fmac_f32_e32 v24, 0x3f167918, v25
	v_fmac_f32_e32 v26, 0x3e9e377a, v28
	;; [unrolled: 1-line block ×3, first 2 shown]
	v_add_f32_e32 v28, v38, v27
	v_fmac_f32_e32 v21, 0x3e9e377a, v22
	v_fmac_f32_e32 v7, 0x3e9e377a, v22
	v_add_f32_e32 v22, v8, v38
	v_fma_f32 v8, -0.5, v28, v8
	v_mov_b32_e32 v28, v8
	v_add_f32_e32 v22, v22, v40
	v_fmac_f32_e32 v28, 0x3f737871, v25
	v_fmac_f32_e32 v8, 0xbf737871, v25
	v_add_f32_e32 v25, v41, v43
	v_add_f32_e32 v22, v22, v42
	v_sub_f32_e32 v29, v40, v38
	v_sub_f32_e32 v30, v42, v27
	v_fma_f32 v25, -0.5, v25, v9
	v_add_f32_e32 v22, v22, v27
	v_fmac_f32_e32 v28, 0xbf167918, v23
	v_add_f32_e32 v29, v29, v30
	v_fmac_f32_e32 v8, 0x3f167918, v23
	v_sub_f32_e32 v30, v38, v27
	v_mov_b32_e32 v27, v25
	v_fmac_f32_e32 v28, 0x3e9e377a, v29
	v_fmac_f32_e32 v8, 0x3e9e377a, v29
	;; [unrolled: 1-line block ×3, first 2 shown]
	v_sub_f32_e32 v31, v40, v42
	v_sub_f32_e32 v29, v39, v41
	;; [unrolled: 1-line block ×3, first 2 shown]
	v_fmac_f32_e32 v25, 0xbf737871, v30
	v_fmac_f32_e32 v27, 0x3f167918, v31
	v_add_f32_e32 v29, v29, v32
	v_fmac_f32_e32 v25, 0xbf167918, v31
	v_fmac_f32_e32 v27, 0x3e9e377a, v29
	;; [unrolled: 1-line block ×3, first 2 shown]
	v_add_f32_e32 v29, v39, v44
	v_add_f32_e32 v23, v9, v39
	v_fmac_f32_e32 v9, -0.5, v29
	ds_write_b64 v205, v[0:1]
	v_add_u32_e32 v0, 0x7f8, v119
	v_mov_b32_e32 v29, v9
	ds_write2_b64 v0, v[10:11], v[12:13] offset1:255
	v_add_u32_e32 v0, 0x17e8, v119
	v_add_f32_e32 v23, v23, v41
	v_fmac_f32_e32 v29, 0xbf737871, v31
	v_sub_f32_e32 v32, v41, v39
	v_sub_f32_e32 v33, v43, v44
	ds_write2_b64 v0, v[4:5], v[2:3] offset1:255
	v_add_u32_e32 v0, 0x7f8, v106
	v_add_f32_e32 v14, v14, v35
	v_add_f32_e32 v23, v23, v43
	v_fmac_f32_e32 v29, 0x3f167918, v30
	v_add_f32_e32 v32, v32, v33
	v_fmac_f32_e32 v9, 0x3f737871, v31
	ds_write2_b64 v0, v[18:19], v[20:21] offset1:255
	v_add_u32_e32 v0, 0x17e8, v106
	v_add_f32_e32 v14, v14, v37
	v_add_f32_e32 v23, v23, v44
	v_fmac_f32_e32 v29, 0x3e9e377a, v32
	v_fmac_f32_e32 v9, 0xbf167918, v30
	ds_write2_b64 v0, v[6:7], v[16:17] offset1:255
	ds_write2_b64 v119, v[14:15], v[22:23] offset0:85 offset1:170
	v_add_u32_e32 v0, 0x7f8, v105
	s_movk_i32 s2, 0x1000
	v_fmac_f32_e32 v9, 0x3e9e377a, v32
	ds_write2_b64 v0, v[26:27], v[28:29] offset1:255
	v_add_u32_e32 v0, 0x17e8, v105
	ds_write2_b64 v0, v[8:9], v[24:25] offset1:255
	s_waitcnt lgkmcnt(0)
	s_barrier
	s_and_b64 exec, exec, s[0:1]
	s_cbranch_execz .LBB0_15
; %bb.14:
	global_load_dwordx2 v[0:1], v115, s[8:9]
	ds_read_b64 v[4:5], v205
	v_mad_u64_u32 v[2:3], s[0:1], s6, v100, 0
	v_mad_u64_u32 v[6:7], s[0:1], s4, v116, 0
	s_waitcnt lgkmcnt(0)
	v_mad_u64_u32 v[8:9], s[6:7], s7, v100, v[3:4]
	s_mov_b32 s0, 0xe68019b3
	s_mov_b32 s1, 0x3f49b34c
	v_mad_u64_u32 v[9:10], s[6:7], s5, v116, v[7:8]
	v_mov_b32_e32 v11, s11
	s_mulk_i32 s5, 0x258
	v_mov_b32_e32 v7, v9
	v_lshlrev_b64 v[6:7], 3, v[6:7]
	s_mul_hi_u32 s6, s4, 0x258
	s_mul_i32 s3, s4, 0x258
	s_add_i32 s4, s6, s5
	v_add_u32_e32 v12, 0x1000, v119
	s_waitcnt vmcnt(0)
	v_mul_f32_e32 v3, v5, v1
	v_mul_f32_e32 v1, v4, v1
	v_fmac_f32_e32 v3, v4, v0
	v_fma_f32 v4, v0, v5, -v1
	v_cvt_f64_f32_e32 v[0:1], v3
	v_cvt_f64_f32_e32 v[4:5], v4
	v_mov_b32_e32 v3, v8
	v_lshlrev_b64 v[2:3], 3, v[2:3]
	v_mul_f64 v[0:1], v[0:1], s[0:1]
	v_mul_f64 v[4:5], v[4:5], s[0:1]
	v_add_co_u32_e32 v2, vcc, s10, v2
	v_addc_co_u32_e32 v3, vcc, v11, v3, vcc
	v_cvt_f32_f64_e32 v0, v[0:1]
	v_cvt_f32_f64_e32 v1, v[4:5]
	v_add_co_u32_e32 v4, vcc, v2, v6
	v_addc_co_u32_e32 v5, vcc, v3, v7, vcc
	global_store_dwordx2 v[4:5], v[0:1], off
	global_load_dwordx2 v[6:7], v115, s[8:9] offset:600
	ds_read2_b64 v[0:3], v119 offset0:75 offset1:150
	v_add_co_u32_e32 v4, vcc, s3, v4
	s_waitcnt vmcnt(0) lgkmcnt(0)
	v_mul_f32_e32 v8, v1, v7
	v_mul_f32_e32 v7, v0, v7
	v_fmac_f32_e32 v8, v0, v6
	v_fma_f32 v6, v6, v1, -v7
	v_cvt_f64_f32_e32 v[0:1], v8
	v_cvt_f64_f32_e32 v[6:7], v6
	v_mov_b32_e32 v8, s4
	v_addc_co_u32_e32 v5, vcc, v5, v8, vcc
	v_mul_f64 v[0:1], v[0:1], s[0:1]
	v_mul_f64 v[6:7], v[6:7], s[0:1]
	v_cvt_f32_f64_e32 v0, v[0:1]
	v_cvt_f32_f64_e32 v1, v[6:7]
	global_store_dwordx2 v[4:5], v[0:1], off
	global_load_dwordx2 v[0:1], v115, s[8:9] offset:1200
	v_add_co_u32_e32 v4, vcc, s3, v4
	s_waitcnt vmcnt(0)
	v_mul_f32_e32 v6, v3, v1
	v_mul_f32_e32 v1, v2, v1
	v_fmac_f32_e32 v6, v2, v0
	v_fma_f32 v2, v0, v3, -v1
	v_cvt_f64_f32_e32 v[0:1], v6
	v_cvt_f64_f32_e32 v[2:3], v2
	v_mov_b32_e32 v6, s4
	v_addc_co_u32_e32 v5, vcc, v5, v6, vcc
	v_mul_f64 v[0:1], v[0:1], s[0:1]
	v_mul_f64 v[2:3], v[2:3], s[0:1]
	v_cvt_f32_f64_e32 v0, v[0:1]
	v_cvt_f32_f64_e32 v1, v[2:3]
	global_store_dwordx2 v[4:5], v[0:1], off
	global_load_dwordx2 v[6:7], v115, s[8:9] offset:1800
	v_add_u32_e32 v0, 0x400, v119
	ds_read2_b64 v[0:3], v0 offset0:97 offset1:172
	v_add_co_u32_e32 v4, vcc, s3, v4
	s_waitcnt vmcnt(0) lgkmcnt(0)
	v_mul_f32_e32 v8, v1, v7
	v_mul_f32_e32 v7, v0, v7
	v_fmac_f32_e32 v8, v0, v6
	v_fma_f32 v6, v6, v1, -v7
	v_cvt_f64_f32_e32 v[0:1], v8
	v_cvt_f64_f32_e32 v[6:7], v6
	v_mov_b32_e32 v8, s4
	v_addc_co_u32_e32 v5, vcc, v5, v8, vcc
	v_mul_f64 v[0:1], v[0:1], s[0:1]
	v_mul_f64 v[6:7], v[6:7], s[0:1]
	v_cvt_f32_f64_e32 v0, v[0:1]
	v_cvt_f32_f64_e32 v1, v[6:7]
	global_store_dwordx2 v[4:5], v[0:1], off
	global_load_dwordx2 v[0:1], v115, s[8:9] offset:2400
	v_add_co_u32_e32 v4, vcc, s3, v4
	s_waitcnt vmcnt(0)
	v_mul_f32_e32 v6, v3, v1
	v_mul_f32_e32 v1, v2, v1
	v_fmac_f32_e32 v6, v2, v0
	v_fma_f32 v2, v0, v3, -v1
	v_cvt_f64_f32_e32 v[0:1], v6
	v_cvt_f64_f32_e32 v[2:3], v2
	v_mov_b32_e32 v6, s4
	v_addc_co_u32_e32 v5, vcc, v5, v6, vcc
	v_mul_f64 v[0:1], v[0:1], s[0:1]
	v_mul_f64 v[2:3], v[2:3], s[0:1]
	v_cvt_f32_f64_e32 v0, v[0:1]
	v_cvt_f32_f64_e32 v1, v[2:3]
	global_store_dwordx2 v[4:5], v[0:1], off
	global_load_dwordx2 v[6:7], v115, s[8:9] offset:3000
	v_add_u32_e32 v0, 0x800, v119
	ds_read2_b64 v[0:3], v0 offset0:119 offset1:194
	v_add_co_u32_e32 v4, vcc, s3, v4
	s_waitcnt vmcnt(0) lgkmcnt(0)
	v_mul_f32_e32 v8, v1, v7
	v_mul_f32_e32 v7, v0, v7
	v_fmac_f32_e32 v8, v0, v6
	v_fma_f32 v6, v6, v1, -v7
	v_cvt_f64_f32_e32 v[0:1], v8
	v_cvt_f64_f32_e32 v[6:7], v6
	v_mov_b32_e32 v8, s4
	v_addc_co_u32_e32 v5, vcc, v5, v8, vcc
	v_mul_f64 v[0:1], v[0:1], s[0:1]
	v_mul_f64 v[6:7], v[6:7], s[0:1]
	v_add_co_u32_e32 v10, vcc, s8, v115
	v_cvt_f32_f64_e32 v0, v[0:1]
	v_cvt_f32_f64_e32 v1, v[6:7]
	global_store_dwordx2 v[4:5], v[0:1], off
	global_load_dwordx2 v[0:1], v115, s[8:9] offset:3600
	s_waitcnt vmcnt(0)
	v_mul_f32_e32 v6, v3, v1
	v_mul_f32_e32 v1, v2, v1
	v_fmac_f32_e32 v6, v2, v0
	v_fma_f32 v2, v0, v3, -v1
	v_cvt_f64_f32_e32 v[0:1], v6
	v_cvt_f64_f32_e32 v[2:3], v2
	v_mov_b32_e32 v6, s9
	v_addc_co_u32_e32 v11, vcc, 0, v6, vcc
	v_mul_f64 v[0:1], v[0:1], s[0:1]
	v_mul_f64 v[2:3], v[2:3], s[0:1]
	v_add_co_u32_e32 v6, vcc, s2, v10
	v_addc_co_u32_e32 v7, vcc, 0, v11, vcc
	v_add_co_u32_e32 v4, vcc, s3, v4
	v_cvt_f32_f64_e32 v0, v[0:1]
	v_cvt_f32_f64_e32 v1, v[2:3]
	v_addc_co_u32_e32 v5, vcc, v5, v8, vcc
	s_movk_i32 s2, 0x2000
	global_store_dwordx2 v[4:5], v[0:1], off
	global_load_dwordx2 v[8:9], v[6:7], off offset:104
	ds_read2_b64 v[0:3], v12 offset0:13 offset1:88
	v_add_co_u32_e32 v4, vcc, s3, v4
	s_waitcnt vmcnt(0) lgkmcnt(0)
	v_mul_f32_e32 v13, v1, v9
	v_mul_f32_e32 v9, v0, v9
	v_fmac_f32_e32 v13, v0, v8
	v_fma_f32 v8, v8, v1, -v9
	v_cvt_f64_f32_e32 v[0:1], v13
	v_cvt_f64_f32_e32 v[8:9], v8
	v_mov_b32_e32 v13, s4
	v_addc_co_u32_e32 v5, vcc, v5, v13, vcc
	v_mul_f64 v[0:1], v[0:1], s[0:1]
	v_mul_f64 v[8:9], v[8:9], s[0:1]
	v_cvt_f32_f64_e32 v0, v[0:1]
	v_cvt_f32_f64_e32 v1, v[8:9]
	global_store_dwordx2 v[4:5], v[0:1], off
	global_load_dwordx2 v[0:1], v[6:7], off offset:704
	v_add_co_u32_e32 v4, vcc, s3, v4
	s_waitcnt vmcnt(0)
	v_mul_f32_e32 v8, v3, v1
	v_mul_f32_e32 v1, v2, v1
	v_fmac_f32_e32 v8, v2, v0
	v_fma_f32 v2, v0, v3, -v1
	v_cvt_f64_f32_e32 v[0:1], v8
	v_cvt_f64_f32_e32 v[2:3], v2
	v_mov_b32_e32 v8, s4
	v_addc_co_u32_e32 v5, vcc, v5, v8, vcc
	v_mul_f64 v[0:1], v[0:1], s[0:1]
	v_mul_f64 v[2:3], v[2:3], s[0:1]
	v_cvt_f32_f64_e32 v0, v[0:1]
	v_cvt_f32_f64_e32 v1, v[2:3]
	global_store_dwordx2 v[4:5], v[0:1], off
	global_load_dwordx2 v[8:9], v[6:7], off offset:1304
	ds_read2_b64 v[0:3], v12 offset0:163 offset1:238
	v_add_co_u32_e32 v4, vcc, s3, v4
	s_waitcnt vmcnt(0) lgkmcnt(0)
	v_mul_f32_e32 v12, v1, v9
	v_mul_f32_e32 v9, v0, v9
	v_fmac_f32_e32 v12, v0, v8
	v_fma_f32 v8, v8, v1, -v9
	v_cvt_f64_f32_e32 v[0:1], v12
	v_cvt_f64_f32_e32 v[8:9], v8
	v_mov_b32_e32 v12, s4
	v_addc_co_u32_e32 v5, vcc, v5, v12, vcc
	v_mul_f64 v[0:1], v[0:1], s[0:1]
	v_mul_f64 v[8:9], v[8:9], s[0:1]
	v_cvt_f32_f64_e32 v0, v[0:1]
	v_cvt_f32_f64_e32 v1, v[8:9]
	global_store_dwordx2 v[4:5], v[0:1], off
	global_load_dwordx2 v[0:1], v[6:7], off offset:1904
	v_add_co_u32_e32 v4, vcc, s3, v4
	s_waitcnt vmcnt(0)
	v_mul_f32_e32 v8, v3, v1
	v_mul_f32_e32 v1, v2, v1
	v_fmac_f32_e32 v8, v2, v0
	v_fma_f32 v2, v0, v3, -v1
	v_cvt_f64_f32_e32 v[0:1], v8
	v_cvt_f64_f32_e32 v[2:3], v2
	v_mov_b32_e32 v8, s4
	v_addc_co_u32_e32 v5, vcc, v5, v8, vcc
	v_mul_f64 v[0:1], v[0:1], s[0:1]
	v_mul_f64 v[2:3], v[2:3], s[0:1]
	v_cvt_f32_f64_e32 v0, v[0:1]
	v_cvt_f32_f64_e32 v1, v[2:3]
	global_store_dwordx2 v[4:5], v[0:1], off
	global_load_dwordx2 v[8:9], v[6:7], off offset:2504
	v_add_u32_e32 v0, 0x1800, v119
	ds_read2_b64 v[0:3], v0 offset0:57 offset1:132
	v_add_co_u32_e32 v4, vcc, s3, v4
	s_waitcnt vmcnt(0) lgkmcnt(0)
	v_mul_f32_e32 v12, v1, v9
	v_mul_f32_e32 v9, v0, v9
	v_fmac_f32_e32 v12, v0, v8
	v_fma_f32 v8, v8, v1, -v9
	v_cvt_f64_f32_e32 v[0:1], v12
	v_cvt_f64_f32_e32 v[8:9], v8
	v_mov_b32_e32 v12, s4
	v_addc_co_u32_e32 v5, vcc, v5, v12, vcc
	v_mul_f64 v[0:1], v[0:1], s[0:1]
	v_mul_f64 v[8:9], v[8:9], s[0:1]
	v_cvt_f32_f64_e32 v0, v[0:1]
	v_cvt_f32_f64_e32 v1, v[8:9]
	global_store_dwordx2 v[4:5], v[0:1], off
	global_load_dwordx2 v[0:1], v[6:7], off offset:3104
	v_add_co_u32_e32 v4, vcc, s3, v4
	s_waitcnt vmcnt(0)
	v_mul_f32_e32 v8, v3, v1
	v_mul_f32_e32 v1, v2, v1
	v_fmac_f32_e32 v8, v2, v0
	v_fma_f32 v2, v0, v3, -v1
	v_cvt_f64_f32_e32 v[0:1], v8
	v_cvt_f64_f32_e32 v[2:3], v2
	v_mov_b32_e32 v8, s4
	v_addc_co_u32_e32 v5, vcc, v5, v8, vcc
	v_mul_f64 v[0:1], v[0:1], s[0:1]
	v_mul_f64 v[2:3], v[2:3], s[0:1]
	v_cvt_f32_f64_e32 v0, v[0:1]
	v_cvt_f32_f64_e32 v1, v[2:3]
	global_store_dwordx2 v[4:5], v[0:1], off
	global_load_dwordx2 v[6:7], v[6:7], off offset:3704
	v_add_u32_e32 v0, 0x1c00, v119
	ds_read2_b64 v[0:3], v0 offset0:79 offset1:154
	s_waitcnt vmcnt(0) lgkmcnt(0)
	v_mul_f32_e32 v8, v1, v7
	v_mul_f32_e32 v7, v0, v7
	v_fmac_f32_e32 v8, v0, v6
	v_fma_f32 v6, v6, v1, -v7
	v_cvt_f64_f32_e32 v[0:1], v8
	v_cvt_f64_f32_e32 v[6:7], v6
	v_add_co_u32_e32 v8, vcc, s2, v10
	v_mul_f64 v[0:1], v[0:1], s[0:1]
	v_mul_f64 v[6:7], v[6:7], s[0:1]
	v_addc_co_u32_e32 v9, vcc, 0, v11, vcc
	v_add_co_u32_e32 v4, vcc, s3, v4
	v_addc_co_u32_e32 v5, vcc, v5, v12, vcc
	v_cvt_f32_f64_e32 v0, v[0:1]
	v_cvt_f32_f64_e32 v1, v[6:7]
	global_store_dwordx2 v[4:5], v[0:1], off
	global_load_dwordx2 v[0:1], v[8:9], off offset:208
	v_add_co_u32_e32 v4, vcc, s3, v4
	s_waitcnt vmcnt(0)
	v_mul_f32_e32 v6, v3, v1
	v_mul_f32_e32 v1, v2, v1
	v_fmac_f32_e32 v6, v2, v0
	v_fma_f32 v2, v0, v3, -v1
	v_cvt_f64_f32_e32 v[0:1], v6
	v_cvt_f64_f32_e32 v[2:3], v2
	v_mov_b32_e32 v6, s4
	v_addc_co_u32_e32 v5, vcc, v5, v6, vcc
	v_mul_f64 v[0:1], v[0:1], s[0:1]
	v_mul_f64 v[2:3], v[2:3], s[0:1]
	v_cvt_f32_f64_e32 v0, v[0:1]
	v_cvt_f32_f64_e32 v1, v[2:3]
	global_store_dwordx2 v[4:5], v[0:1], off
	global_load_dwordx2 v[6:7], v[8:9], off offset:808
	v_add_u32_e32 v0, 0x2000, v119
	ds_read2_b64 v[0:3], v0 offset0:101 offset1:176
	v_add_co_u32_e32 v4, vcc, s3, v4
	s_waitcnt vmcnt(0) lgkmcnt(0)
	v_mul_f32_e32 v10, v1, v7
	v_mul_f32_e32 v7, v0, v7
	v_fmac_f32_e32 v10, v0, v6
	v_fma_f32 v6, v6, v1, -v7
	v_cvt_f64_f32_e32 v[0:1], v10
	v_cvt_f64_f32_e32 v[6:7], v6
	v_mov_b32_e32 v10, s4
	v_addc_co_u32_e32 v5, vcc, v5, v10, vcc
	v_mul_f64 v[0:1], v[0:1], s[0:1]
	v_mul_f64 v[6:7], v[6:7], s[0:1]
	v_cvt_f32_f64_e32 v0, v[0:1]
	v_cvt_f32_f64_e32 v1, v[6:7]
	global_store_dwordx2 v[4:5], v[0:1], off
	global_load_dwordx2 v[0:1], v[8:9], off offset:1408
	s_waitcnt vmcnt(0)
	v_mul_f32_e32 v6, v3, v1
	v_mul_f32_e32 v1, v2, v1
	v_fmac_f32_e32 v6, v2, v0
	v_fma_f32 v2, v0, v3, -v1
	v_cvt_f64_f32_e32 v[0:1], v6
	v_cvt_f64_f32_e32 v[2:3], v2
	v_mov_b32_e32 v6, s4
	v_mul_f64 v[0:1], v[0:1], s[0:1]
	v_mul_f64 v[2:3], v[2:3], s[0:1]
	v_cvt_f32_f64_e32 v0, v[0:1]
	v_cvt_f32_f64_e32 v1, v[2:3]
	v_add_co_u32_e32 v2, vcc, s3, v4
	v_addc_co_u32_e32 v3, vcc, v5, v6, vcc
	global_store_dwordx2 v[2:3], v[0:1], off
.LBB0_15:
	s_endpgm
	.section	.rodata,"a",@progbits
	.p2align	6, 0x0
	.amdhsa_kernel bluestein_single_back_len1275_dim1_sp_op_CI_CI
		.amdhsa_group_segment_fixed_size 30600
		.amdhsa_private_segment_fixed_size 88
		.amdhsa_kernarg_size 104
		.amdhsa_user_sgpr_count 6
		.amdhsa_user_sgpr_private_segment_buffer 1
		.amdhsa_user_sgpr_dispatch_ptr 0
		.amdhsa_user_sgpr_queue_ptr 0
		.amdhsa_user_sgpr_kernarg_segment_ptr 1
		.amdhsa_user_sgpr_dispatch_id 0
		.amdhsa_user_sgpr_flat_scratch_init 0
		.amdhsa_user_sgpr_private_segment_size 0
		.amdhsa_uses_dynamic_stack 0
		.amdhsa_system_sgpr_private_segment_wavefront_offset 1
		.amdhsa_system_sgpr_workgroup_id_x 1
		.amdhsa_system_sgpr_workgroup_id_y 0
		.amdhsa_system_sgpr_workgroup_id_z 0
		.amdhsa_system_sgpr_workgroup_info 0
		.amdhsa_system_vgpr_workitem_id 0
		.amdhsa_next_free_vgpr 256
		.amdhsa_next_free_sgpr 24
		.amdhsa_reserve_vcc 1
		.amdhsa_reserve_flat_scratch 0
		.amdhsa_float_round_mode_32 0
		.amdhsa_float_round_mode_16_64 0
		.amdhsa_float_denorm_mode_32 3
		.amdhsa_float_denorm_mode_16_64 3
		.amdhsa_dx10_clamp 1
		.amdhsa_ieee_mode 1
		.amdhsa_fp16_overflow 0
		.amdhsa_exception_fp_ieee_invalid_op 0
		.amdhsa_exception_fp_denorm_src 0
		.amdhsa_exception_fp_ieee_div_zero 0
		.amdhsa_exception_fp_ieee_overflow 0
		.amdhsa_exception_fp_ieee_underflow 0
		.amdhsa_exception_fp_ieee_inexact 0
		.amdhsa_exception_int_div_zero 0
	.end_amdhsa_kernel
	.text
.Lfunc_end0:
	.size	bluestein_single_back_len1275_dim1_sp_op_CI_CI, .Lfunc_end0-bluestein_single_back_len1275_dim1_sp_op_CI_CI
                                        ; -- End function
	.section	.AMDGPU.csdata,"",@progbits
; Kernel info:
; codeLenInByte = 22668
; NumSgprs: 28
; NumVgprs: 256
; ScratchSize: 88
; MemoryBound: 0
; FloatMode: 240
; IeeeMode: 1
; LDSByteSize: 30600 bytes/workgroup (compile time only)
; SGPRBlocks: 3
; VGPRBlocks: 63
; NumSGPRsForWavesPerEU: 28
; NumVGPRsForWavesPerEU: 256
; Occupancy: 1
; WaveLimiterHint : 1
; COMPUTE_PGM_RSRC2:SCRATCH_EN: 1
; COMPUTE_PGM_RSRC2:USER_SGPR: 6
; COMPUTE_PGM_RSRC2:TRAP_HANDLER: 0
; COMPUTE_PGM_RSRC2:TGID_X_EN: 1
; COMPUTE_PGM_RSRC2:TGID_Y_EN: 0
; COMPUTE_PGM_RSRC2:TGID_Z_EN: 0
; COMPUTE_PGM_RSRC2:TIDIG_COMP_CNT: 0
	.type	__hip_cuid_12b193bb9ecee3ec,@object ; @__hip_cuid_12b193bb9ecee3ec
	.section	.bss,"aw",@nobits
	.globl	__hip_cuid_12b193bb9ecee3ec
__hip_cuid_12b193bb9ecee3ec:
	.byte	0                               ; 0x0
	.size	__hip_cuid_12b193bb9ecee3ec, 1

	.ident	"AMD clang version 19.0.0git (https://github.com/RadeonOpenCompute/llvm-project roc-6.4.0 25133 c7fe45cf4b819c5991fe208aaa96edf142730f1d)"
	.section	".note.GNU-stack","",@progbits
	.addrsig
	.addrsig_sym __hip_cuid_12b193bb9ecee3ec
	.amdgpu_metadata
---
amdhsa.kernels:
  - .args:
      - .actual_access:  read_only
        .address_space:  global
        .offset:         0
        .size:           8
        .value_kind:     global_buffer
      - .actual_access:  read_only
        .address_space:  global
        .offset:         8
        .size:           8
        .value_kind:     global_buffer
      - .actual_access:  read_only
        .address_space:  global
        .offset:         16
        .size:           8
        .value_kind:     global_buffer
      - .actual_access:  read_only
        .address_space:  global
        .offset:         24
        .size:           8
        .value_kind:     global_buffer
      - .actual_access:  read_only
        .address_space:  global
        .offset:         32
        .size:           8
        .value_kind:     global_buffer
      - .offset:         40
        .size:           8
        .value_kind:     by_value
      - .address_space:  global
        .offset:         48
        .size:           8
        .value_kind:     global_buffer
      - .address_space:  global
        .offset:         56
        .size:           8
        .value_kind:     global_buffer
      - .address_space:  global
        .offset:         64
        .size:           8
        .value_kind:     global_buffer
      - .address_space:  global
        .offset:         72
        .size:           8
        .value_kind:     global_buffer
      - .offset:         80
        .size:           4
        .value_kind:     by_value
      - .address_space:  global
        .offset:         88
        .size:           8
        .value_kind:     global_buffer
      - .address_space:  global
        .offset:         96
        .size:           8
        .value_kind:     global_buffer
    .group_segment_fixed_size: 30600
    .kernarg_segment_align: 8
    .kernarg_segment_size: 104
    .language:       OpenCL C
    .language_version:
      - 2
      - 0
    .max_flat_workgroup_size: 255
    .name:           bluestein_single_back_len1275_dim1_sp_op_CI_CI
    .private_segment_fixed_size: 88
    .sgpr_count:     28
    .sgpr_spill_count: 0
    .symbol:         bluestein_single_back_len1275_dim1_sp_op_CI_CI.kd
    .uniform_work_group_size: 1
    .uses_dynamic_stack: false
    .vgpr_count:     256
    .vgpr_spill_count: 21
    .wavefront_size: 64
amdhsa.target:   amdgcn-amd-amdhsa--gfx906
amdhsa.version:
  - 1
  - 2
...

	.end_amdgpu_metadata
